;; amdgpu-corpus repo=ROCm/aiter kind=harvested arch=n/a opt=n/a

/root/src/amdgpu-assembly/repos/ROCm__aiter/hsa/gfx950/bf16gemm/bf16gemm_fp32bf16_tn_160x64_bshuffle_splitk.co:	file format elf64-amdgpu

Disassembly of section .text:

0000000000002900 <_ZN5aiter43bf16gemm_fp32bf16_tn_160x64_bshuffle_splitkE>:
	s_mov_b32 s49, s4                                          // 000000002900: BEB10004
	s_and_b32 s1, s1, 0xffff                                   // 000000002904: 8601FF01 0000FFFF
	s_load_dword s25, s[0:1], 0xe0                             // 00000000290C: C0020640 000000E0
	s_load_dword s26, s[0:1], 0xf0                             // 000000002914: C0020680 000000F0
	s_load_dword s27, s[0:1], 0x100                            // 00000000291C: C00206C0 00000100
	s_load_dword s28, s[0:1], 0xa0                             // 000000002924: C0020700 000000A0
	s_load_dword s29, s[0:1], 0xc0                             // 00000000292C: C0020740 000000C0
	s_load_dword s30, s[0:1], 0x80                             // 000000002934: C0020780 00000080
	s_load_dword s20, s[0:1], 0x40                             // 00000000293C: C0020500 00000040
	s_load_dword s21, s[0:1], 0x50                             // 000000002944: C0020540 00000050
	s_load_dwordx2 s[4:5], s[0:1], 0x20                        // 00000000294C: C0060100 00000020
	s_load_dwordx2 s[8:9], s[0:1], 0x30                        // 000000002954: C0060200 00000030
	s_load_dwordx2 s[12:13], s[0:1], 0x10                      // 00000000295C: C0060300 00000010
	s_load_dwordx2 s[16:17], s[0:1], 0x0                       // 000000002964: C0060400 00000000
	s_load_dword s48, s[0:1], 0x110                            // 00000000296C: C0020C00 00000110
	s_load_dword s50, s[0:1], 0x120                            // 000000002974: C0020C80 00000120
	s_load_dwordx2 s[36:37], s[0:1], 0x130                     // 00000000297C: C0060900 00000130
	s_load_dword s57, s[0:1], 0x140                            // 000000002984: C0020E40 00000140
	v_lshrrev_b32_e32 v1, 10, v0                               // 00000000298C: 2002008A
	v_lshrrev_b32_e32 v2, 10, v1                               // 000000002990: 2004028A
	v_and_b32_e32 v2, 0x3ff, v2                                // 000000002994: 260404FF 000003FF
	v_and_b32_e32 v1, 0x3ff, v1                                // 00000000299C: 260202FF 000003FF
	v_and_b32_e32 v0, 0x3ff, v0                                // 0000000029A4: 260000FF 000003FF
	v_lshrrev_b32_e32 v3, 6, v0                                // 0000000029AC: 20060086
	v_and_b32_e32 v0, 63, v0                                   // 0000000029B0: 260000BF
	s_mov_b32 s22, s2                                          // 0000000029B4: BE960002
	s_mov_b32 s23, s3                                          // 0000000029B8: BE970003
	v_readfirstlane_b32 s24, v3                                // 0000000029BC: 7E300503
	s_waitcnt lgkmcnt(0)                                       // 0000000029C0: BF8CC07F
	s_mov_b32 s18, -16                                         // 0000000029C4: BE9200D0
	s_mov_b32 s14, -16                                         // 0000000029C8: BE8E00D0
	s_mov_b32 s10, -16                                         // 0000000029CC: BE8A00D0
	s_mov_b32 s6, -16                                          // 0000000029D0: BE8600D0
	s_mov_b32 s38, -16                                         // 0000000029D4: BEA600D0
	s_mov_b32 s19, 0x20000                                     // 0000000029D8: BE9300FF 00020000
	s_mov_b32 s15, 0x20000                                     // 0000000029E0: BE8F00FF 00020000
	s_mov_b32 s11, 0x20000                                     // 0000000029E8: BE8B00FF 00020000
	s_mov_b32 s7, 0x20000                                      // 0000000029F0: BE8700FF 00020000
	s_mov_b32 s39, 0x20000                                     // 0000000029F8: BEA700FF 00020000
	s_and_b32 s17, s17, 0xffff                                 // 000000002A00: 8611FF11 0000FFFF
	s_and_b32 s13, s13, 0xffff                                 // 000000002A08: 860DFF0D 0000FFFF
	s_and_b32 s9, s9, 0xffff                                   // 000000002A10: 8609FF09 0000FFFF
	s_and_b32 s5, s5, 0xffff                                   // 000000002A18: 8605FF05 0000FFFF
	s_and_b32 s37, s37, 0xffff                                 // 000000002A20: 8625FF25 0000FFFF
	s_or_b32 s17, s17, 0x40000                                 // 000000002A28: 8711FF11 00040000
	s_or_b32 s13, s13, 0x40000                                 // 000000002A30: 870DFF0D 00040000
	s_or_b32 s9, s9, 0x40000                                   // 000000002A38: 8709FF09 00040000
	s_or_b32 s5, s5, 0x40000                                   // 000000002A40: 8705FF05 00040000
	s_or_b32 s37, s37, 0x40000                                 // 000000002A48: 8725FF25 00040000
	s_mov_b32 s35, 0x7060302                                   // 000000002A50: BEA300FF 07060302
	v_mov_b32_e32 v9, 0xffff0000                               // 000000002A58: 7E1202FF FFFF0000
	v_mov_b32_e32 v10, 0x7fff0000                              // 000000002A60: 7E1402FF 7FFF0000
	v_mov_b32_e32 v11, 0x7fff                                  // 000000002A68: 7E1602FF 00007FFF
	s_mul_i32 s31, s28, s25                                    // 000000002A70: 921F191C
	s_mov_b32 s6, s31                                          // 000000002A74: BE86001F
	s_mov_b32 s40, 0x80                                        // 000000002A78: BEA800FF 00000080
	v_lshrrev_b32_e32 v4, 5, v0                                // 000000002A80: 20080085
	v_lshlrev_b32_e32 v4, 2, v4                                // 000000002A84: 24080882
	v_mul_lo_u32 v23, v4, s28                                  // 000000002A88: D2850017 00003904
	v_and_b32_e32 v4, 31, v0                                   // 000000002A90: 2608009F
	v_lshlrev_b32_e32 v4, 2, v4                                // 000000002A94: 24080882
	v_add_u32_e32 v23, v23, v4                                 // 000000002A98: 682E0917
	s_mul_i32 s31, 8, s28                                      // 000000002A9C: 921F1C88
	v_add_u32_e64 v24, v23, s31                                // 000000002AA0: D1340018 00003F17
	v_add_u32_e64 v25, v24, s31                                // 000000002AA8: D1340019 00003F18
	v_add_u32_e64 v26, v25, s31                                // 000000002AB0: D134001A 00003F19
	v_add_u32_e64 v27, v26, s31                                // 000000002AB8: D134001B 00003F1A
	v_add_u32_e64 v28, v27, s31                                // 000000002AC0: D134001C 00003F1B
	v_add_u32_e64 v29, v28, s31                                // 000000002AC8: D134001D 00003F1C
	v_add_u32_e64 v30, v29, s31                                // 000000002AD0: D134001E 00003F1D
	v_add_u32_e64 v31, v30, s31                                // 000000002AD8: D134001F 00003F1E
	v_add_u32_e64 v32, v31, s31                                // 000000002AE0: D1340020 00003F1F
	v_add_u32_e64 v33, v32, s31                                // 000000002AE8: D1340021 00003F20
	v_add_u32_e64 v34, v33, s31                                // 000000002AF0: D1340022 00003F21
	v_add_u32_e64 v35, v34, s31                                // 000000002AF8: D1340023 00003F22
	v_add_u32_e64 v36, v35, s31                                // 000000002B00: D1340024 00003F23
	v_add_u32_e64 v37, v36, s31                                // 000000002B08: D1340025 00003F24
	v_add_u32_e64 v38, v37, s31                                // 000000002B10: D1340026 00003F25
	v_add_u32_e64 v39, v38, s31                                // 000000002B18: D1340027 00003F26
	v_add_u32_e64 v40, v39, s31                                // 000000002B20: D1340028 00003F27
	v_add_u32_e64 v41, v40, s31                                // 000000002B28: D1340029 00003F28
	v_add_u32_e64 v42, v41, s31                                // 000000002B30: D134002A 00003F29
	s_mul_i32 s31, s23, 0xa0                                   // 000000002B38: 921FFF17 000000A0
	s_add_u32 s31, s31, s24                                    // 000000002B40: 801F181F
	s_mul_i32 s32, s31, s28                                    // 000000002B44: 92201C1F
	v_add_u32_e64 v23, v23, s32                                // 000000002B48: D1340017 00004117
	v_add_u32_e64 v24, v24, s32                                // 000000002B50: D1340018 00004118
	v_add_u32_e64 v25, v25, s32                                // 000000002B58: D1340019 00004119
	v_add_u32_e64 v26, v26, s32                                // 000000002B60: D134001A 0000411A
	v_add_u32_e64 v27, v27, s32                                // 000000002B68: D134001B 0000411B
	v_add_u32_e64 v28, v28, s32                                // 000000002B70: D134001C 0000411C
	v_add_u32_e64 v29, v29, s32                                // 000000002B78: D134001D 0000411D
	v_add_u32_e64 v30, v30, s32                                // 000000002B80: D134001E 0000411E
	v_add_u32_e64 v31, v31, s32                                // 000000002B88: D134001F 0000411F
	v_add_u32_e64 v32, v32, s32                                // 000000002B90: D1340020 00004120
	v_add_u32_e64 v33, v33, s32                                // 000000002B98: D1340021 00004121
	v_add_u32_e64 v34, v34, s32                                // 000000002BA0: D1340022 00004122
	v_add_u32_e64 v35, v35, s32                                // 000000002BA8: D1340023 00004123
	v_add_u32_e64 v36, v36, s32                                // 000000002BB0: D1340024 00004124
	v_add_u32_e64 v37, v37, s32                                // 000000002BB8: D1340025 00004125
	v_add_u32_e64 v38, v38, s32                                // 000000002BC0: D1340026 00004126
	v_add_u32_e64 v39, v39, s32                                // 000000002BC8: D1340027 00004127
	v_add_u32_e64 v40, v40, s32                                // 000000002BD0: D1340028 00004128
	v_add_u32_e64 v41, v41, s32                                // 000000002BD8: D1340029 00004129
	v_add_u32_e64 v42, v42, s32                                // 000000002BE0: D134002A 0000412A
	v_lshrrev_b32_e32 v4, 4, v0                                // 000000002BE8: 20080084
	v_lshlrev_b32_e32 v5, 2, v4                                // 000000002BEC: 240A0882
	v_and_b32_e32 v4, 15, v0                                   // 000000002BF0: 2608008F
	v_lshrrev_b32_e32 v6, 2, v4                                // 000000002BF4: 200C0882
	v_lshlrev_b32_e32 v6, 5, v6                                // 000000002BF8: 240C0C85
	v_add_u32_e32 v5, v6, v5                                   // 000000002BFC: 680A0B06
	v_and_b32_e32 v4, 3, v0                                    // 000000002C00: 26080083
	v_mul_u32_u24_e32 v6, 0x508, v4                            // 000000002C04: 100C08FF 00000508
	v_add_u32_e32 v5, v6, v5                                   // 000000002C0C: 680A0B06
	v_lshlrev_b32_e32 v43, 2, v5                               // 000000002C10: 24560A82
	s_mul_i32 s31, s24, 0x1420                                 // 000000002C14: 921FFF18 00001420
	s_add_u32 s42, 0, s31                                      // 000000002C1C: 802A1F80
	s_add_u32 s43, 0x5080, s42                                 // 000000002C20: 802B2AFF 00005080
	s_add_u32 s44, 0x5080, s43                                 // 000000002C28: 802C2BFF 00005080
	s_mul_i32 s31, s29, s26                                    // 000000002C30: 921F1A1D
	s_mov_b32 s10, s31                                         // 000000002C34: BE8A001F
	s_mov_b32 s41, 0x800                                       // 000000002C38: BEA900FF 00000800
	v_lshlrev_b32_e32 v44, 4, v0                               // 000000002C40: 24580084
	s_mov_b32 s31, 0x400                                       // 000000002C44: BE9F00FF 00000400
	v_add_u32_e64 v45, v44, s31                                // 000000002C4C: D134002D 00003F2C
	s_mul_i32 s31, s22, 64                                     // 000000002C54: 921FC016
	s_mul_i32 s32, 16, s24                                     // 000000002C58: 92201890
	s_add_u32 s31, s31, s32                                    // 000000002C5C: 801F201F
	s_mul_i32 s32, s31, s29                                    // 000000002C60: 92201D1F
	v_add_u32_e64 v44, v44, s32                                // 000000002C64: D134002C 0000412C
	v_add_u32_e64 v45, v45, s32                                // 000000002C6C: D134002D 0000412D
	s_cmp_le_u32 s48, 1                                        // 000000002C74: BF0B8130
	s_cbranch_scc1 label_0135                                  // 000000002C78: BF850056
	s_lshr_b32 s32, s27, 6                                     // 000000002C7C: 8F20861B
	v_cvt_f32_u32_e32 v4, s48                                  // 000000002C80: 7E080C30
	s_sub_i32 s31, 0, s48                                      // 000000002C84: 819F3080
	v_rcp_iflag_f32_e32 v4, v4                                 // 000000002C88: 7E084704
	s_nop 0                                                    // 000000002C8C: BF800000
	v_mul_f32_e32 v4, 0x4f7ffffe, v4                           // 000000002C90: 0A0808FF 4F7FFFFE
	v_cvt_u32_f32_e32 v4, v4                                   // 000000002C98: 7E080F04
	v_mul_lo_u32 v5, s31, v4                                   // 000000002C9C: D2850005 0002081F
	v_mul_hi_u32 v5, v4, v5                                    // 000000002CA4: D2860005 00020B04
	v_add_u32_e32 v4, v4, v5                                   // 000000002CAC: 68080B04
	v_mul_hi_u32 v4, s32, v4                                   // 000000002CB0: D2860004 00020820
	v_mul_lo_u32 v5, v4, s48                                   // 000000002CB8: D2850005 00006104
	v_sub_u32_e32 v7, s32, v5                                  // 000000002CC0: 6A0E0A20
	v_add_u32_e32 v6, 1, v4                                    // 000000002CC4: 680C0881
	v_cmp_le_u32_e32 vcc, s48, v7                              // 000000002CC8: 7D960E30
	v_subrev_u32_e32 v5, s48, v7                               // 000000002CCC: 6C0A0E30
	s_nop 0                                                    // 000000002CD0: BF800000
	v_cndmask_b32_e32 v4, v4, v6, vcc                          // 000000002CD4: 00080D04
	v_cndmask_b32_e32 v7, v7, v5, vcc                          // 000000002CD8: 000E0B07
	v_add_u32_e32 v5, 1, v4                                    // 000000002CDC: 680A0881
	v_cmp_le_u32_e32 vcc, s48, v7                              // 000000002CE0: 7D960E30
	s_nop 1                                                    // 000000002CE4: BF800001
	v_cndmask_b32_e32 v7, v4, v5, vcc                          // 000000002CE8: 000E0B04
	s_nop 3                                                    // 000000002CEC: BF800003
	v_readfirstlane_b32 s32, v7                                // 000000002CF0: 7E400507
	s_nop 3                                                    // 000000002CF4: BF800003
	s_mul_i32 s32, s32, 64                                     // 000000002CF8: 9220C020
	s_mul_i32 s31, s49, s32                                    // 000000002CFC: 921F2031
	s_sub_i32 s52, s27, s31                                    // 000000002D00: 81B41F1B
	s_sub_i32 s31, s48, 1                                      // 000000002D04: 819F8130
	s_cmp_eq_i32 s49, s31                                      // 000000002D08: BF001F31
	s_cselect_b32 s27, s52, s32                                // 000000002D0C: 851B2034
	s_mul_i32 s31, s32, 2                                      // 000000002D10: 921F8220
	s_mul_i32 s31, s31, s49                                    // 000000002D14: 921F311F
	v_add_u32_e64 v23, v23, s31                                // 000000002D18: D1340017 00003F17
	v_add_u32_e64 v24, v24, s31                                // 000000002D20: D1340018 00003F18
	v_add_u32_e64 v25, v25, s31                                // 000000002D28: D1340019 00003F19
	v_add_u32_e64 v26, v26, s31                                // 000000002D30: D134001A 00003F1A
	v_add_u32_e64 v27, v27, s31                                // 000000002D38: D134001B 00003F1B
	v_add_u32_e64 v28, v28, s31                                // 000000002D40: D134001C 00003F1C
	v_add_u32_e64 v29, v29, s31                                // 000000002D48: D134001D 00003F1D
	v_add_u32_e64 v30, v30, s31                                // 000000002D50: D134001E 00003F1E
	v_add_u32_e64 v31, v31, s31                                // 000000002D58: D134001F 00003F1F
	v_add_u32_e64 v32, v32, s31                                // 000000002D60: D1340020 00003F20
	v_add_u32_e64 v33, v33, s31                                // 000000002D68: D1340021 00003F21
	v_add_u32_e64 v34, v34, s31                                // 000000002D70: D1340022 00003F22
	v_add_u32_e64 v35, v35, s31                                // 000000002D78: D1340023 00003F23
	v_add_u32_e64 v36, v36, s31                                // 000000002D80: D1340024 00003F24
	v_add_u32_e64 v37, v37, s31                                // 000000002D88: D1340025 00003F25
	v_add_u32_e64 v38, v38, s31                                // 000000002D90: D1340026 00003F26
	v_add_u32_e64 v39, v39, s31                                // 000000002D98: D1340027 00003F27
	v_add_u32_e64 v40, v40, s31                                // 000000002DA0: D1340028 00003F28
	v_add_u32_e64 v41, v41, s31                                // 000000002DA8: D1340029 00003F29
	v_add_u32_e64 v42, v42, s31                                // 000000002DB0: D134002A 00003F2A
	s_mul_i32 s31, s32, 2                                      // 000000002DB8: 921F8220
	s_mul_i32 s31, s31, s49                                    // 000000002DBC: 921F311F
	s_mul_i32 s31, s31, 16                                     // 000000002DC0: 921F901F
	v_add_u32_e64 v44, v44, s31                                // 000000002DC4: D134002C 00003F2C
	v_add_u32_e64 v45, v45, s31                                // 000000002DCC: D134002D 00003F2D

0000000000002dd4 <label_0135>:
	s_mul_i32 s31, s30, s25                                    // 000000002DD4: 921F191E
	s_mov_b32 s18, s31                                         // 000000002DD8: BE92001F
	s_cmp_lt_u32 s50, 1                                        // 000000002DDC: BF0A8132
	s_cbranch_scc0 label_015D                                  // 000000002DE0: BF840024
	v_and_b32_e64 v12, v0, 15                                  // 000000002DE4: D113000C 00011F00
	v_mul_lo_u32 v12, v12, s30                                 // 000000002DEC: D285000C 00003D0C
	v_lshrrev_b32_e32 v4, 4, v0                                // 000000002DF4: 20080084
	v_mul_i32_i24_e32 v4, 16, v4                               // 000000002DF8: 0C080890
	v_add_u32_e32 v12, v4, v12                                 // 000000002DFC: 68181904
	s_mul_i32 s31, s23, 0xa0                                   // 000000002E00: 921FFF17 000000A0
	s_mul_i32 s31, s31, s30                                    // 000000002E08: 921F1E1F
	v_add_u32_e32 v12, s31, v12                                // 000000002E0C: 6818181F
	s_mul_i32 s31, s22, 64                                     // 000000002E10: 921FC016
	s_mul_i32 s31, s31, 4                                      // 000000002E14: 921F841F
	v_add_u32_e32 v12, s31, v12                                // 000000002E18: 6818181F
	s_mul_i32 s31, 64, s24                                     // 000000002E1C: 921F18C0
	v_add_u32_e32 v12, s31, v12                                // 000000002E20: 6818181F
	s_mul_i32 s31, 16, s30                                     // 000000002E24: 921F1E90
	v_add_u32_e32 v13, s31, v12                                // 000000002E28: 681A181F
	v_add_u32_e32 v14, s31, v13                                // 000000002E2C: 681C1A1F
	v_add_u32_e32 v15, s31, v14                                // 000000002E30: 681E1C1F
	v_add_u32_e32 v16, s31, v15                                // 000000002E34: 68201E1F
	v_add_u32_e32 v17, s31, v16                                // 000000002E38: 6822201F
	v_add_u32_e32 v18, s31, v17                                // 000000002E3C: 6824221F
	v_add_u32_e32 v19, s31, v18                                // 000000002E40: 6826241F
	v_add_u32_e32 v20, s31, v19                                // 000000002E44: 6828261F
	v_add_u32_e32 v21, s31, v20                                // 000000002E48: 682A281F
	s_mul_i32 s31, s23, 0xa0                                   // 000000002E4C: 921FFF17 000000A0
	s_add_i32 s31, s31, s24                                    // 000000002E54: 811F181F
	s_mul_i32 s31, s31, s30                                    // 000000002E58: 921F1E1F
	s_mul_i32 s32, s22, 64                                     // 000000002E5C: 9220C016
	s_mul_i32 s32, s32, 4                                      // 000000002E60: 92208420
	s_add_i32 s31, s31, s32                                    // 000000002E64: 811F201F
	v_lshlrev_b32_e32 v22, 2, v0                               // 000000002E68: 242C0082
	v_add_u32_e32 v22, s31, v22                                // 000000002E6C: 682C2C1F
	s_branch label_0186                                        // 000000002E70: BF820029

0000000000002e74 <label_015D>:
	v_and_b32_e64 v12, v0, 15                                  // 000000002E74: D113000C 00011F00
	v_mul_lo_u32 v12, v12, s30                                 // 000000002E7C: D285000C 00003D0C
	v_lshrrev_b32_e32 v4, 4, v0                                // 000000002E84: 20080084
	v_mul_i32_i24_e32 v4, 8, v4                                // 000000002E88: 0C080888
	v_add_u32_e32 v12, v4, v12                                 // 000000002E8C: 68181904
	s_mul_i32 s31, s23, 0xa0                                   // 000000002E90: 921FFF17 000000A0
	s_mul_i32 s31, s31, s30                                    // 000000002E98: 921F1E1F
	v_add_u32_e32 v12, s31, v12                                // 000000002E9C: 6818181F
	s_mul_i32 s31, s22, 64                                     // 000000002EA0: 921FC016
	s_mul_i32 s31, s31, 2                                      // 000000002EA4: 921F821F
	v_add_u32_e32 v12, s31, v12                                // 000000002EA8: 6818181F
	s_mul_i32 s31, 32, s24                                     // 000000002EAC: 921F18A0
	v_add_u32_e32 v12, s31, v12                                // 000000002EB0: 6818181F
	s_mul_i32 s31, 16, s30                                     // 000000002EB4: 921F1E90
	v_add_u32_e32 v13, s31, v12                                // 000000002EB8: 681A181F
	v_add_u32_e32 v14, s31, v13                                // 000000002EBC: 681C1A1F
	v_add_u32_e32 v15, s31, v14                                // 000000002EC0: 681E1C1F
	v_add_u32_e32 v16, s31, v15                                // 000000002EC4: 68201E1F
	v_add_u32_e32 v17, s31, v16                                // 000000002EC8: 6822201F
	v_add_u32_e32 v18, s31, v17                                // 000000002ECC: 6824221F
	v_add_u32_e32 v19, s31, v18                                // 000000002ED0: 6826241F
	v_add_u32_e32 v20, s31, v19                                // 000000002ED4: 6828261F
	v_add_u32_e32 v21, s31, v20                                // 000000002ED8: 682A281F
	s_mul_i32 s31, s23, 0xa0                                   // 000000002EDC: 921FFF17 000000A0
	s_add_i32 s31, s31, s24                                    // 000000002EE4: 811F181F
	s_mul_i32 s31, s31, s30                                    // 000000002EE8: 921F1E1F
	s_mul_i32 s32, s22, 64                                     // 000000002EEC: 9220C016
	s_mul_i32 s32, s32, 2                                      // 000000002EF0: 92208220
	s_add_i32 s31, s31, s32                                    // 000000002EF4: 811F201F
	v_lshrrev_b32_e32 v4, 5, v0                                // 000000002EF8: 20080085
	s_mul_i32 s32, s30, 4                                      // 000000002EFC: 9220841E
	v_mul_lo_u32 v4, v4, s32                                   // 000000002F00: D2850004 00004104
	v_and_b32_e32 v5, 31, v0                                   // 000000002F08: 260A009F
	v_lshlrev_b32_e32 v5, 2, v5                                // 000000002F0C: 240A0A82
	v_add_u32_e32 v22, v4, v5                                  // 000000002F10: 682C0B04
	v_add_u32_e32 v22, s31, v22                                // 000000002F14: 682C2C1F

0000000000002f18 <label_0186>:
	s_cmp_eq_u32 s57, 1                                        // 000000002F18: BF068139
	s_cbranch_scc0 label_01D1                                  // 000000002F1C: BF840049
	s_cmp_eq_i32 s49, 0                                        // 000000002F20: BF008031
	s_cbranch_scc0 label_01D1                                  // 000000002F24: BF840047
	s_mul_i32 s31, 2, s26                                      // 000000002F28: 921F1A82
	s_mov_b32 s38, s31                                         // 000000002F2C: BEA6001F
	v_lshrrev_b32_e32 v4, 4, v0                                // 000000002F30: 20080084
	v_mul_i32_i24_e32 v108, 8, v4                              // 000000002F34: 0CD80888
	s_mul_i32 s31, 32, s24                                     // 000000002F38: 921F18A0
	v_add_u32_e32 v108, s31, v108                              // 000000002F3C: 68D8D81F
	s_mul_i32 s32, s22, 64                                     // 000000002F40: 9220C016
	s_mul_i32 s32, s32, 2                                      // 000000002F44: 92208220
	v_add_u32_e32 v108, s32, v108                              // 000000002F48: 68D8D820
	v_mov_b32_e32 v110, 0                                      // 000000002F4C: 7EDC0280
	v_mov_b32_e32 v111, 0                                      // 000000002F50: 7EDE0280
	buffer_load_dwordx2 v[110:111], v108, s[36:39], 0 offen    // 000000002F54: E0541000 80096E6C
	s_waitcnt vmcnt(0)                                         // 000000002F5C: BF8C0F70
	v_mov_b32_e32 v4, 0xffff0000                               // 000000002F60: 7E0802FF FFFF0000
	v_and_b32_e32 v4, v110, v4                                 // 000000002F68: 2608096E
	v_mov_b32_e32 v5, 0xffff                                   // 000000002F6C: 7E0A02FF 0000FFFF
	v_and_b32_e32 v5, v110, v5                                 // 000000002F74: 260A0B6E
	v_mov_b32_e32 v113, v4                                     // 000000002F78: 7EE20304
	v_lshlrev_b32_e32 v112, 16, v5                             // 000000002F7C: 24E00A90
	v_mov_b32_e32 v4, 0xffff0000                               // 000000002F80: 7E0802FF FFFF0000
	v_and_b32_e32 v4, v111, v4                                 // 000000002F88: 2608096F
	v_mov_b32_e32 v5, 0xffff                                   // 000000002F8C: 7E0A02FF 0000FFFF
	v_and_b32_e32 v5, v111, v5                                 // 000000002F94: 260A0B6F
	v_mov_b32_e32 v115, v4                                     // 000000002F98: 7EE60304
	v_lshlrev_b32_e32 v114, 16, v5                             // 000000002F9C: 24E40A90
	v_mov_b32_e32 v48, v112                                    // 000000002FA0: 7E600370
	v_mov_b32_e32 v49, v113                                    // 000000002FA4: 7E620371
	v_mov_b32_e32 v50, v114                                    // 000000002FA8: 7E640372
	v_mov_b32_e32 v51, v115                                    // 000000002FAC: 7E660373
	v_mov_b32_e32 v52, v112                                    // 000000002FB0: 7E680370
	v_mov_b32_e32 v53, v113                                    // 000000002FB4: 7E6A0371
	v_mov_b32_e32 v54, v114                                    // 000000002FB8: 7E6C0372
	v_mov_b32_e32 v55, v115                                    // 000000002FBC: 7E6E0373
	v_mov_b32_e32 v56, v112                                    // 000000002FC0: 7E700370
	v_mov_b32_e32 v57, v113                                    // 000000002FC4: 7E720371
	v_mov_b32_e32 v58, v114                                    // 000000002FC8: 7E740372
	v_mov_b32_e32 v59, v115                                    // 000000002FCC: 7E760373
	v_mov_b32_e32 v60, v112                                    // 000000002FD0: 7E780370
	v_mov_b32_e32 v61, v113                                    // 000000002FD4: 7E7A0371
	v_mov_b32_e32 v62, v114                                    // 000000002FD8: 7E7C0372
	v_mov_b32_e32 v63, v115                                    // 000000002FDC: 7E7E0373
	v_mov_b32_e32 v64, v112                                    // 000000002FE0: 7E800370
	v_mov_b32_e32 v65, v113                                    // 000000002FE4: 7E820371
	v_mov_b32_e32 v66, v114                                    // 000000002FE8: 7E840372
	v_mov_b32_e32 v67, v115                                    // 000000002FEC: 7E860373
	v_mov_b32_e32 v68, v112                                    // 000000002FF0: 7E880370
	v_mov_b32_e32 v69, v113                                    // 000000002FF4: 7E8A0371
	v_mov_b32_e32 v70, v114                                    // 000000002FF8: 7E8C0372
	v_mov_b32_e32 v71, v115                                    // 000000002FFC: 7E8E0373
	v_mov_b32_e32 v72, v112                                    // 000000003000: 7E900370
	v_mov_b32_e32 v73, v113                                    // 000000003004: 7E920371
	v_mov_b32_e32 v74, v114                                    // 000000003008: 7E940372
	v_mov_b32_e32 v75, v115                                    // 00000000300C: 7E960373
	v_mov_b32_e32 v76, v112                                    // 000000003010: 7E980370
	v_mov_b32_e32 v77, v113                                    // 000000003014: 7E9A0371
	v_mov_b32_e32 v78, v114                                    // 000000003018: 7E9C0372
	v_mov_b32_e32 v79, v115                                    // 00000000301C: 7E9E0373
	v_mov_b32_e32 v80, v112                                    // 000000003020: 7EA00370
	v_mov_b32_e32 v81, v113                                    // 000000003024: 7EA20371
	v_mov_b32_e32 v82, v114                                    // 000000003028: 7EA40372
	v_mov_b32_e32 v83, v115                                    // 00000000302C: 7EA60373
	v_mov_b32_e32 v84, v112                                    // 000000003030: 7EA80370
	v_mov_b32_e32 v85, v113                                    // 000000003034: 7EAA0371
	v_mov_b32_e32 v86, v114                                    // 000000003038: 7EAC0372
	v_mov_b32_e32 v87, v115                                    // 00000000303C: 7EAE0373
	s_branch label_01F9                                        // 000000003040: BF820028

0000000000003044 <label_01D1>:
	v_mov_b32_e32 v48, 0                                       // 000000003044: 7E600280
	v_mov_b32_e32 v49, 0                                       // 000000003048: 7E620280
	v_mov_b32_e32 v50, 0                                       // 00000000304C: 7E640280
	v_mov_b32_e32 v51, 0                                       // 000000003050: 7E660280
	v_mov_b32_e32 v52, 0                                       // 000000003054: 7E680280
	v_mov_b32_e32 v53, 0                                       // 000000003058: 7E6A0280
	v_mov_b32_e32 v54, 0                                       // 00000000305C: 7E6C0280
	v_mov_b32_e32 v55, 0                                       // 000000003060: 7E6E0280
	v_mov_b32_e32 v56, 0                                       // 000000003064: 7E700280
	v_mov_b32_e32 v57, 0                                       // 000000003068: 7E720280
	v_mov_b32_e32 v58, 0                                       // 00000000306C: 7E740280
	v_mov_b32_e32 v59, 0                                       // 000000003070: 7E760280
	v_mov_b32_e32 v60, 0                                       // 000000003074: 7E780280
	v_mov_b32_e32 v61, 0                                       // 000000003078: 7E7A0280
	v_mov_b32_e32 v62, 0                                       // 00000000307C: 7E7C0280
	v_mov_b32_e32 v63, 0                                       // 000000003080: 7E7E0280
	v_mov_b32_e32 v64, 0                                       // 000000003084: 7E800280
	v_mov_b32_e32 v65, 0                                       // 000000003088: 7E820280
	v_mov_b32_e32 v66, 0                                       // 00000000308C: 7E840280
	v_mov_b32_e32 v67, 0                                       // 000000003090: 7E860280
	v_mov_b32_e32 v68, 0                                       // 000000003094: 7E880280
	v_mov_b32_e32 v69, 0                                       // 000000003098: 7E8A0280
	v_mov_b32_e32 v70, 0                                       // 00000000309C: 7E8C0280
	v_mov_b32_e32 v71, 0                                       // 0000000030A0: 7E8E0280
	v_mov_b32_e32 v72, 0                                       // 0000000030A4: 7E900280
	v_mov_b32_e32 v73, 0                                       // 0000000030A8: 7E920280
	v_mov_b32_e32 v74, 0                                       // 0000000030AC: 7E940280
	v_mov_b32_e32 v75, 0                                       // 0000000030B0: 7E960280
	v_mov_b32_e32 v76, 0                                       // 0000000030B4: 7E980280
	v_mov_b32_e32 v77, 0                                       // 0000000030B8: 7E9A0280
	v_mov_b32_e32 v78, 0                                       // 0000000030BC: 7E9C0280
	v_mov_b32_e32 v79, 0                                       // 0000000030C0: 7E9E0280
	v_mov_b32_e32 v80, 0                                       // 0000000030C4: 7EA00280
	v_mov_b32_e32 v81, 0                                       // 0000000030C8: 7EA20280
	v_mov_b32_e32 v82, 0                                       // 0000000030CC: 7EA40280
	v_mov_b32_e32 v83, 0                                       // 0000000030D0: 7EA60280
	v_mov_b32_e32 v84, 0                                       // 0000000030D4: 7EA80280
	v_mov_b32_e32 v85, 0                                       // 0000000030D8: 7EAA0280
	v_mov_b32_e32 v86, 0                                       // 0000000030DC: 7EAC0280
	v_mov_b32_e32 v87, 0                                       // 0000000030E0: 7EAE0280

00000000000030e4 <label_01F9>:
	s_add_u32 m0, 0, s42                                       // 0000000030E4: 807C2A80
	buffer_load_dword v23, s[4:7], 0 offen lds                 // 0000000030E8: E0511000 80010017
	s_add_u32 m0, 0x100, s42                                   // 0000000030F0: 807C2AFF 00000100
	buffer_load_dword v24, s[4:7], 0 offen lds                 // 0000000030F8: E0511000 80010018
	s_add_u32 m0, 0x200, s42                                   // 000000003100: 807C2AFF 00000200
	buffer_load_dword v25, s[4:7], 0 offen lds                 // 000000003108: E0511000 80010019
	s_add_u32 m0, 0x300, s42                                   // 000000003110: 807C2AFF 00000300
	buffer_load_dword v26, s[4:7], 0 offen lds                 // 000000003118: E0511000 8001001A
	s_add_u32 m0, 0x400, s42                                   // 000000003120: 807C2AFF 00000400
	buffer_load_dword v27, s[4:7], 0 offen lds                 // 000000003128: E0511000 8001001B
	s_add_u32 m0, 0x500, s42                                   // 000000003130: 807C2AFF 00000500
	buffer_load_dword v28, s[4:7], 0 offen lds                 // 000000003138: E0511000 8001001C
	s_add_u32 m0, 0x600, s42                                   // 000000003140: 807C2AFF 00000600
	buffer_load_dword v29, s[4:7], 0 offen lds                 // 000000003148: E0511000 8001001D
	s_add_u32 m0, 0x700, s42                                   // 000000003150: 807C2AFF 00000700
	buffer_load_dword v30, s[4:7], 0 offen lds                 // 000000003158: E0511000 8001001E
	s_add_u32 m0, 0x800, s42                                   // 000000003160: 807C2AFF 00000800
	buffer_load_dword v31, s[4:7], 0 offen lds                 // 000000003168: E0511000 8001001F
	s_add_u32 m0, 0x900, s42                                   // 000000003170: 807C2AFF 00000900
	buffer_load_dword v32, s[4:7], 0 offen lds                 // 000000003178: E0511000 80010020
	s_add_u32 m0, 0xa00, s42                                   // 000000003180: 807C2AFF 00000A00
	buffer_load_dword v33, s[4:7], 0 offen lds                 // 000000003188: E0511000 80010021
	s_add_u32 m0, 0xb00, s42                                   // 000000003190: 807C2AFF 00000B00
	buffer_load_dword v34, s[4:7], 0 offen lds                 // 000000003198: E0511000 80010022
	s_add_u32 m0, 0xc00, s42                                   // 0000000031A0: 807C2AFF 00000C00
	buffer_load_dword v35, s[4:7], 0 offen lds                 // 0000000031A8: E0511000 80010023
	s_add_u32 m0, 0xd00, s42                                   // 0000000031B0: 807C2AFF 00000D00
	buffer_load_dword v36, s[4:7], 0 offen lds                 // 0000000031B8: E0511000 80010024
	s_add_u32 m0, 0xe00, s42                                   // 0000000031C0: 807C2AFF 00000E00
	buffer_load_dword v37, s[4:7], 0 offen lds                 // 0000000031C8: E0511000 80010025
	s_add_u32 m0, 0xf00, s42                                   // 0000000031D0: 807C2AFF 00000F00
	buffer_load_dword v38, s[4:7], 0 offen lds                 // 0000000031D8: E0511000 80010026
	s_add_u32 m0, 0x1000, s42                                  // 0000000031E0: 807C2AFF 00001000
	buffer_load_dword v39, s[4:7], 0 offen lds                 // 0000000031E8: E0511000 80010027
	s_add_u32 m0, 0x1100, s42                                  // 0000000031F0: 807C2AFF 00001100
	buffer_load_dword v40, s[4:7], 0 offen lds                 // 0000000031F8: E0511000 80010028
	s_add_u32 m0, 0x1200, s42                                  // 000000003200: 807C2AFF 00001200
	buffer_load_dword v41, s[4:7], 0 offen lds                 // 000000003208: E0511000 80010029
	s_add_u32 m0, 0x1300, s42                                  // 000000003210: 807C2AFF 00001300
	buffer_load_dword v42, s[4:7], 0 offen lds                 // 000000003218: E0511000 8001002A
	s_add_u32 s4, s40, s4                                      // 000000003220: 80040428
	s_addc_u32 s5, 0, s5                                       // 000000003224: 82050580
	s_sub_u32 s6, s6, s40                                      // 000000003228: 80862806
	buffer_load_dwordx4 a[160:163], v44, s[8:11], 0 offen      // 00000000322C: E05C1000 8082A02C
	buffer_load_dwordx4 a[164:167], v45, s[8:11], 0 offen      // 000000003234: E05C1000 8082A42D
	s_add_u32 s8, s41, s8                                      // 00000000323C: 80080829
	s_addc_u32 s9, 0, s9                                       // 000000003240: 82090980
	s_sub_u32 s10, s10, s41                                    // 000000003244: 808A290A
	s_add_u32 m0, 0, s43                                       // 000000003248: 807C2B80
	buffer_load_dword v23, s[4:7], 0 offen lds                 // 00000000324C: E0511000 80010017
	s_add_u32 m0, 0x100, s43                                   // 000000003254: 807C2BFF 00000100
	buffer_load_dword v24, s[4:7], 0 offen lds                 // 00000000325C: E0511000 80010018
	s_add_u32 m0, 0x200, s43                                   // 000000003264: 807C2BFF 00000200
	buffer_load_dword v25, s[4:7], 0 offen lds                 // 00000000326C: E0511000 80010019
	s_add_u32 m0, 0x300, s43                                   // 000000003274: 807C2BFF 00000300
	buffer_load_dword v26, s[4:7], 0 offen lds                 // 00000000327C: E0511000 8001001A
	s_add_u32 m0, 0x400, s43                                   // 000000003284: 807C2BFF 00000400
	buffer_load_dword v27, s[4:7], 0 offen lds                 // 00000000328C: E0511000 8001001B
	s_add_u32 m0, 0x500, s43                                   // 000000003294: 807C2BFF 00000500
	buffer_load_dword v28, s[4:7], 0 offen lds                 // 00000000329C: E0511000 8001001C
	s_add_u32 m0, 0x600, s43                                   // 0000000032A4: 807C2BFF 00000600
	buffer_load_dword v29, s[4:7], 0 offen lds                 // 0000000032AC: E0511000 8001001D
	s_add_u32 m0, 0x700, s43                                   // 0000000032B4: 807C2BFF 00000700
	buffer_load_dword v30, s[4:7], 0 offen lds                 // 0000000032BC: E0511000 8001001E
	s_add_u32 m0, 0x800, s43                                   // 0000000032C4: 807C2BFF 00000800
	buffer_load_dword v31, s[4:7], 0 offen lds                 // 0000000032CC: E0511000 8001001F
	s_add_u32 m0, 0x900, s43                                   // 0000000032D4: 807C2BFF 00000900
	buffer_load_dword v32, s[4:7], 0 offen lds                 // 0000000032DC: E0511000 80010020
	s_add_u32 m0, 0xa00, s43                                   // 0000000032E4: 807C2BFF 00000A00
	buffer_load_dword v33, s[4:7], 0 offen lds                 // 0000000032EC: E0511000 80010021
	s_add_u32 m0, 0xb00, s43                                   // 0000000032F4: 807C2BFF 00000B00
	buffer_load_dword v34, s[4:7], 0 offen lds                 // 0000000032FC: E0511000 80010022
	s_add_u32 m0, 0xc00, s43                                   // 000000003304: 807C2BFF 00000C00
	buffer_load_dword v35, s[4:7], 0 offen lds                 // 00000000330C: E0511000 80010023
	s_add_u32 m0, 0xd00, s43                                   // 000000003314: 807C2BFF 00000D00
	buffer_load_dword v36, s[4:7], 0 offen lds                 // 00000000331C: E0511000 80010024
	s_add_u32 m0, 0xe00, s43                                   // 000000003324: 807C2BFF 00000E00
	buffer_load_dword v37, s[4:7], 0 offen lds                 // 00000000332C: E0511000 80010025
	s_add_u32 m0, 0xf00, s43                                   // 000000003334: 807C2BFF 00000F00
	buffer_load_dword v38, s[4:7], 0 offen lds                 // 00000000333C: E0511000 80010026
	s_add_u32 m0, 0x1000, s43                                  // 000000003344: 807C2BFF 00001000
	buffer_load_dword v39, s[4:7], 0 offen lds                 // 00000000334C: E0511000 80010027
	s_add_u32 m0, 0x1100, s43                                  // 000000003354: 807C2BFF 00001100
	buffer_load_dword v40, s[4:7], 0 offen lds                 // 00000000335C: E0511000 80010028
	s_add_u32 m0, 0x1200, s43                                  // 000000003364: 807C2BFF 00001200
	buffer_load_dword v41, s[4:7], 0 offen lds                 // 00000000336C: E0511000 80010029
	s_add_u32 m0, 0x1300, s43                                  // 000000003374: 807C2BFF 00001300
	buffer_load_dword v42, s[4:7], 0 offen lds                 // 00000000337C: E0511000 8001002A
	s_add_u32 s4, s40, s4                                      // 000000003384: 80040428
	s_addc_u32 s5, 0, s5                                       // 000000003388: 82050580
	s_sub_u32 s6, s6, s40                                      // 00000000338C: 80862806
	buffer_load_dwordx4 a[168:171], v44, s[8:11], 0 offen      // 000000003390: E05C1000 8082A82C
	buffer_load_dwordx4 a[172:175], v45, s[8:11], 0 offen      // 000000003398: E05C1000 8082AC2D
	s_add_u32 s8, s41, s8                                      // 0000000033A0: 80080829
	s_addc_u32 s9, 0, s9                                       // 0000000033A4: 82090980
	s_sub_u32 s10, s10, s41                                    // 0000000033A8: 808A290A
	s_add_u32 m0, 0, s44                                       // 0000000033AC: 807C2C80
	buffer_load_dword v23, s[4:7], 0 offen lds                 // 0000000033B0: E0511000 80010017
	s_add_u32 m0, 0x100, s44                                   // 0000000033B8: 807C2CFF 00000100
	buffer_load_dword v24, s[4:7], 0 offen lds                 // 0000000033C0: E0511000 80010018
	s_add_u32 m0, 0x200, s44                                   // 0000000033C8: 807C2CFF 00000200
	buffer_load_dword v25, s[4:7], 0 offen lds                 // 0000000033D0: E0511000 80010019
	s_add_u32 m0, 0x300, s44                                   // 0000000033D8: 807C2CFF 00000300
	buffer_load_dword v26, s[4:7], 0 offen lds                 // 0000000033E0: E0511000 8001001A
	s_add_u32 m0, 0x400, s44                                   // 0000000033E8: 807C2CFF 00000400
	buffer_load_dword v27, s[4:7], 0 offen lds                 // 0000000033F0: E0511000 8001001B
	s_add_u32 m0, 0x500, s44                                   // 0000000033F8: 807C2CFF 00000500
	buffer_load_dword v28, s[4:7], 0 offen lds                 // 000000003400: E0511000 8001001C
	s_add_u32 m0, 0x600, s44                                   // 000000003408: 807C2CFF 00000600
	buffer_load_dword v29, s[4:7], 0 offen lds                 // 000000003410: E0511000 8001001D
	s_add_u32 m0, 0x700, s44                                   // 000000003418: 807C2CFF 00000700
	buffer_load_dword v30, s[4:7], 0 offen lds                 // 000000003420: E0511000 8001001E
	s_add_u32 m0, 0x800, s44                                   // 000000003428: 807C2CFF 00000800
	buffer_load_dword v31, s[4:7], 0 offen lds                 // 000000003430: E0511000 8001001F
	s_add_u32 m0, 0x900, s44                                   // 000000003438: 807C2CFF 00000900
	buffer_load_dword v32, s[4:7], 0 offen lds                 // 000000003440: E0511000 80010020
	s_add_u32 m0, 0xa00, s44                                   // 000000003448: 807C2CFF 00000A00
	buffer_load_dword v33, s[4:7], 0 offen lds                 // 000000003450: E0511000 80010021
	s_add_u32 m0, 0xb00, s44                                   // 000000003458: 807C2CFF 00000B00
	buffer_load_dword v34, s[4:7], 0 offen lds                 // 000000003460: E0511000 80010022
	s_add_u32 m0, 0xc00, s44                                   // 000000003468: 807C2CFF 00000C00
	buffer_load_dword v35, s[4:7], 0 offen lds                 // 000000003470: E0511000 80010023
	s_add_u32 m0, 0xd00, s44                                   // 000000003478: 807C2CFF 00000D00
	buffer_load_dword v36, s[4:7], 0 offen lds                 // 000000003480: E0511000 80010024
	s_add_u32 m0, 0xe00, s44                                   // 000000003488: 807C2CFF 00000E00
	buffer_load_dword v37, s[4:7], 0 offen lds                 // 000000003490: E0511000 80010025
	s_add_u32 m0, 0xf00, s44                                   // 000000003498: 807C2CFF 00000F00
	buffer_load_dword v38, s[4:7], 0 offen lds                 // 0000000034A0: E0511000 80010026
	s_add_u32 m0, 0x1000, s44                                  // 0000000034A8: 807C2CFF 00001000
	buffer_load_dword v39, s[4:7], 0 offen lds                 // 0000000034B0: E0511000 80010027
	s_add_u32 m0, 0x1100, s44                                  // 0000000034B8: 807C2CFF 00001100
	buffer_load_dword v40, s[4:7], 0 offen lds                 // 0000000034C0: E0511000 80010028
	s_add_u32 m0, 0x1200, s44                                  // 0000000034C8: 807C2CFF 00001200
	buffer_load_dword v41, s[4:7], 0 offen lds                 // 0000000034D0: E0511000 80010029
	s_add_u32 m0, 0x1300, s44                                  // 0000000034D8: 807C2CFF 00001300
	buffer_load_dword v42, s[4:7], 0 offen lds                 // 0000000034E0: E0511000 8001002A
	s_add_u32 s4, s40, s4                                      // 0000000034E8: 80040428
	s_addc_u32 s5, 0, s5                                       // 0000000034EC: 82050580
	s_sub_u32 s6, s6, s40                                      // 0000000034F0: 80862806
	s_mov_b32 s34, s27                                         // 0000000034F4: BEA2001B
	s_mov_b32 s33, 0                                           // 0000000034F8: BEA10080
	s_mul_i32 s31, s23, 0xa0                                   // 0000000034FC: 921FFF17 000000A0
	s_sub_i32 s51, s25, s31                                    // 000000003504: 81B31F19
	s_waitcnt vmcnt(44)                                        // 000000003508: BF8C8F7C
	s_barrier                                                  // 00000000350C: BF8A0000
	ds_read_b128 a[0:3], v43                                   // 000000003510: DBFE0000 0000002B
	ds_read_b128 a[4:7], v43 offset:64                         // 000000003518: DBFE0040 0400002B
	ds_read_b128 a[8:11], v43 offset:512                       // 000000003520: DBFE0200 0800002B
	ds_read_b128 a[12:15], v43 offset:576                      // 000000003528: DBFE0240 0C00002B
	ds_read_b128 a[16:19], v43 offset:1024                     // 000000003530: DBFE0400 1000002B
	ds_read_b128 a[20:23], v43 offset:1088                     // 000000003538: DBFE0440 1400002B
	ds_read_b128 a[24:27], v43 offset:1536                     // 000000003540: DBFE0600 1800002B
	ds_read_b128 a[28:31], v43 offset:1600                     // 000000003548: DBFE0640 1C00002B
	ds_read_b128 a[32:35], v43 offset:2048                     // 000000003550: DBFE0800 2000002B
	ds_read_b128 a[36:39], v43 offset:2112                     // 000000003558: DBFE0840 2400002B
	ds_read_b128 a[40:43], v43 offset:2560                     // 000000003560: DBFE0A00 2800002B
	ds_read_b128 a[44:47], v43 offset:2624                     // 000000003568: DBFE0A40 2C00002B
	ds_read_b128 a[48:51], v43 offset:3072                     // 000000003570: DBFE0C00 3000002B
	ds_read_b128 a[52:55], v43 offset:3136                     // 000000003578: DBFE0C40 3400002B
	ds_read_b128 a[56:59], v43 offset:3584                     // 000000003580: DBFE0E00 3800002B
	ds_read_b128 a[60:63], v43 offset:3648                     // 000000003588: DBFE0E40 3C00002B
	ds_read_b128 a[64:67], v43 offset:4096                     // 000000003590: DBFE1000 4000002B
	ds_read_b128 a[68:71], v43 offset:4160                     // 000000003598: DBFE1040 4400002B
	ds_read_b128 a[72:75], v43 offset:4608                     // 0000000035A0: DBFE1200 4800002B
	ds_read_b128 a[76:79], v43 offset:4672                     // 0000000035A8: DBFE1240 4C00002B
	s_cmp_lt_i32 s24, 2                                        // 0000000035B0: BF048218
	s_cbranch_scc0 label_0857                                  // 0000000035B4: BF840529

00000000000035b8 <label_032E>:
	s_waitcnt vmcnt(22) lgkmcnt(0)                             // 0000000035B8: BF8C4076
	s_barrier                                                  // 0000000035BC: BF8A0000
	v_mfma_f32_16x16x16_bf16 v[48:51], a[160:161], a[0:1], v[48:51]// 0000000035C0: D3E10030 1CC201A0
	s_add_u32 m0, 0, s42                                       // 0000000035C8: 807C2A80
	buffer_load_dword v23, s[4:7], 0 offen lds                 // 0000000035CC: E0511000 80010017
	v_mfma_f32_16x16x16_bf16 v[48:51], a[162:163], a[2:3], v[48:51]// 0000000035D4: D3E10030 1CC205A2
	s_add_u32 m0, 0x100, s42                                   // 0000000035DC: 807C2AFF 00000100
	buffer_load_dword v24, s[4:7], 0 offen lds                 // 0000000035E4: E0511000 80010018
	ds_read_b128 a[80:83], v43 offset:20608                    // 0000000035EC: DBFE5080 5000002B
	ds_read_b128 a[84:87], v43 offset:20672                    // 0000000035F4: DBFE50C0 5400002B
	v_mfma_f32_16x16x16_bf16 v[48:51], a[164:165], a[4:5], v[48:51]// 0000000035FC: D3E10030 1CC209A4
	s_add_u32 m0, 0x200, s42                                   // 000000003604: 807C2AFF 00000200
	buffer_load_dword v25, s[4:7], 0 offen lds                 // 00000000360C: E0511000 80010019
	v_mfma_f32_16x16x16_bf16 v[48:51], a[166:167], a[6:7], v[48:51]// 000000003614: D3E10030 1CC20DA6
	s_add_u32 m0, 0x300, s42                                   // 00000000361C: 807C2AFF 00000300
	buffer_load_dword v26, s[4:7], 0 offen lds                 // 000000003624: E0511000 8001001A
	ds_read_b128 a[88:91], v43 offset:21120                    // 00000000362C: DBFE5280 5800002B
	ds_read_b128 a[92:95], v43 offset:21184                    // 000000003634: DBFE52C0 5C00002B
	v_mfma_f32_16x16x16_bf16 v[52:55], a[160:161], a[8:9], v[52:55]// 00000000363C: D3E10034 1CD211A0
	s_add_u32 m0, 0x400, s42                                   // 000000003644: 807C2AFF 00000400
	buffer_load_dword v27, s[4:7], 0 offen lds                 // 00000000364C: E0511000 8001001B
	v_mfma_f32_16x16x16_bf16 v[52:55], a[162:163], a[10:11], v[52:55]// 000000003654: D3E10034 1CD215A2
	s_add_u32 m0, 0x500, s42                                   // 00000000365C: 807C2AFF 00000500
	buffer_load_dword v28, s[4:7], 0 offen lds                 // 000000003664: E0511000 8001001C
	ds_read_b128 a[96:99], v43 offset:21632                    // 00000000366C: DBFE5480 6000002B
	ds_read_b128 a[100:103], v43 offset:21696                  // 000000003674: DBFE54C0 6400002B
	v_mfma_f32_16x16x16_bf16 v[52:55], a[164:165], a[12:13], v[52:55]// 00000000367C: D3E10034 1CD219A4
	s_add_u32 m0, 0x600, s42                                   // 000000003684: 807C2AFF 00000600
	buffer_load_dword v29, s[4:7], 0 offen lds                 // 00000000368C: E0511000 8001001D
	v_mfma_f32_16x16x16_bf16 v[52:55], a[166:167], a[14:15], v[52:55]// 000000003694: D3E10034 1CD21DA6
	s_add_u32 m0, 0x700, s42                                   // 00000000369C: 807C2AFF 00000700
	buffer_load_dword v30, s[4:7], 0 offen lds                 // 0000000036A4: E0511000 8001001E
	ds_read_b128 a[104:107], v43 offset:22144                  // 0000000036AC: DBFE5680 6800002B
	ds_read_b128 a[108:111], v43 offset:22208                  // 0000000036B4: DBFE56C0 6C00002B
	v_mfma_f32_16x16x16_bf16 v[56:59], a[160:161], a[16:17], v[56:59]// 0000000036BC: D3E10038 1CE221A0
	s_add_u32 m0, 0x800, s42                                   // 0000000036C4: 807C2AFF 00000800
	buffer_load_dword v31, s[4:7], 0 offen lds                 // 0000000036CC: E0511000 8001001F
	v_mfma_f32_16x16x16_bf16 v[56:59], a[162:163], a[18:19], v[56:59]// 0000000036D4: D3E10038 1CE225A2
	s_add_u32 m0, 0x900, s42                                   // 0000000036DC: 807C2AFF 00000900
	buffer_load_dword v32, s[4:7], 0 offen lds                 // 0000000036E4: E0511000 80010020
	ds_read_b128 a[112:115], v43 offset:22656                  // 0000000036EC: DBFE5880 7000002B
	ds_read_b128 a[116:119], v43 offset:22720                  // 0000000036F4: DBFE58C0 7400002B
	v_mfma_f32_16x16x16_bf16 v[56:59], a[164:165], a[20:21], v[56:59]// 0000000036FC: D3E10038 1CE229A4
	s_add_u32 m0, 0xa00, s42                                   // 000000003704: 807C2AFF 00000A00
	buffer_load_dword v33, s[4:7], 0 offen lds                 // 00000000370C: E0511000 80010021
	v_mfma_f32_16x16x16_bf16 v[56:59], a[166:167], a[22:23], v[56:59]// 000000003714: D3E10038 1CE22DA6
	s_add_u32 m0, 0xb00, s42                                   // 00000000371C: 807C2AFF 00000B00
	buffer_load_dword v34, s[4:7], 0 offen lds                 // 000000003724: E0511000 80010022
	ds_read_b128 a[120:123], v43 offset:23168                  // 00000000372C: DBFE5A80 7800002B
	ds_read_b128 a[124:127], v43 offset:23232                  // 000000003734: DBFE5AC0 7C00002B
	v_mfma_f32_16x16x16_bf16 v[60:63], a[160:161], a[24:25], v[60:63]// 00000000373C: D3E1003C 1CF231A0
	s_add_u32 m0, 0xc00, s42                                   // 000000003744: 807C2AFF 00000C00
	buffer_load_dword v35, s[4:7], 0 offen lds                 // 00000000374C: E0511000 80010023
	v_mfma_f32_16x16x16_bf16 v[60:63], a[162:163], a[26:27], v[60:63]// 000000003754: D3E1003C 1CF235A2
	s_add_u32 m0, 0xd00, s42                                   // 00000000375C: 807C2AFF 00000D00
	buffer_load_dword v36, s[4:7], 0 offen lds                 // 000000003764: E0511000 80010024
	ds_read_b128 a[128:131], v43 offset:23680                  // 00000000376C: DBFE5C80 8000002B
	ds_read_b128 a[132:135], v43 offset:23744                  // 000000003774: DBFE5CC0 8400002B
	v_mfma_f32_16x16x16_bf16 v[60:63], a[164:165], a[28:29], v[60:63]// 00000000377C: D3E1003C 1CF239A4
	s_add_u32 m0, 0xe00, s42                                   // 000000003784: 807C2AFF 00000E00
	buffer_load_dword v37, s[4:7], 0 offen lds                 // 00000000378C: E0511000 80010025
	v_mfma_f32_16x16x16_bf16 v[60:63], a[166:167], a[30:31], v[60:63]// 000000003794: D3E1003C 1CF23DA6
	s_add_u32 m0, 0xf00, s42                                   // 00000000379C: 807C2AFF 00000F00
	buffer_load_dword v38, s[4:7], 0 offen lds                 // 0000000037A4: E0511000 80010026
	ds_read_b128 a[136:139], v43 offset:24192                  // 0000000037AC: DBFE5E80 8800002B
	ds_read_b128 a[140:143], v43 offset:24256                  // 0000000037B4: DBFE5EC0 8C00002B
	v_mfma_f32_16x16x16_bf16 v[64:67], a[160:161], a[32:33], v[64:67]// 0000000037BC: D3E10040 1D0241A0
	s_add_u32 m0, 0x1000, s42                                  // 0000000037C4: 807C2AFF 00001000
	buffer_load_dword v39, s[4:7], 0 offen lds                 // 0000000037CC: E0511000 80010027
	v_mfma_f32_16x16x16_bf16 v[64:67], a[162:163], a[34:35], v[64:67]// 0000000037D4: D3E10040 1D0245A2
	s_add_u32 m0, 0x1100, s42                                  // 0000000037DC: 807C2AFF 00001100
	buffer_load_dword v40, s[4:7], 0 offen lds                 // 0000000037E4: E0511000 80010028
	ds_read_b128 a[144:147], v43 offset:24704                  // 0000000037EC: DBFE6080 9000002B
	ds_read_b128 a[148:151], v43 offset:24768                  // 0000000037F4: DBFE60C0 9400002B
	v_mfma_f32_16x16x16_bf16 v[64:67], a[164:165], a[36:37], v[64:67]// 0000000037FC: D3E10040 1D0249A4
	s_add_u32 m0, 0x1200, s42                                  // 000000003804: 807C2AFF 00001200
	buffer_load_dword v41, s[4:7], 0 offen lds                 // 00000000380C: E0511000 80010029
	v_mfma_f32_16x16x16_bf16 v[64:67], a[166:167], a[38:39], v[64:67]// 000000003814: D3E10040 1D024DA6
	s_add_u32 m0, 0x1300, s42                                  // 00000000381C: 807C2AFF 00001300
	buffer_load_dword v42, s[4:7], 0 offen lds                 // 000000003824: E0511000 8001002A
	ds_read_b128 a[152:155], v43 offset:25216                  // 00000000382C: DBFE6280 9800002B
	ds_read_b128 a[156:159], v43 offset:25280                  // 000000003834: DBFE62C0 9C00002B
	v_mfma_f32_16x16x16_bf16 v[68:71], a[160:161], a[40:41], v[68:71]// 00000000383C: D3E10044 1D1251A0
	s_add_u32 s31, 0x100, s33                                  // 000000003844: 801F21FF 00000100
	s_cmp_lt_u32 s31, s34                                      // 00000000384C: BF0A221F
	s_cselect_b32 s40, s40, 0                                  // 000000003850: 85288028
	buffer_load_dwordx4 a[176:179], v44, s[8:11], 0 offen      // 000000003854: E05C1000 8082B02C
	v_mfma_f32_16x16x16_bf16 v[68:71], a[162:163], a[42:43], v[68:71]// 00000000385C: D3E10044 1D1255A2
	buffer_load_dwordx4 a[180:183], v45, s[8:11], 0 offen      // 000000003864: E05C1000 8082B42D
	s_add_u32 s4, s40, s4                                      // 00000000386C: 80040428
	s_addc_u32 s5, 0, s5                                       // 000000003870: 82050580
	v_mfma_f32_16x16x16_bf16 v[68:71], a[164:165], a[44:45], v[68:71]// 000000003874: D3E10044 1D1259A4
	s_add_u32 s31, 0xc0, s33                                   // 00000000387C: 801F21FF 000000C0
	s_cmp_lt_u32 s31, s34                                      // 000000003884: BF0A221F
	s_cselect_b32 s41, s41, 0                                  // 000000003888: 85298029
	v_mfma_f32_16x16x16_bf16 v[68:71], a[166:167], a[46:47], v[68:71]// 00000000388C: D3E10044 1D125DA6
	s_add_u32 s8, s41, s8                                      // 000000003894: 80080829
	s_addc_u32 s9, 0, s9                                       // 000000003898: 82090980
	v_mfma_f32_16x16x16_bf16 v[72:75], a[160:161], a[48:49], v[72:75]// 00000000389C: D3E10048 1D2261A0
	v_mfma_f32_16x16x16_bf16 v[72:75], a[162:163], a[50:51], v[72:75]// 0000000038A4: D3E10048 1D2265A2
	v_mfma_f32_16x16x16_bf16 v[72:75], a[164:165], a[52:53], v[72:75]// 0000000038AC: D3E10048 1D2269A4
	v_mfma_f32_16x16x16_bf16 v[72:75], a[166:167], a[54:55], v[72:75]// 0000000038B4: D3E10048 1D226DA6
	v_mfma_f32_16x16x16_bf16 v[76:79], a[160:161], a[56:57], v[76:79]// 0000000038BC: D3E1004C 1D3271A0
	v_mfma_f32_16x16x16_bf16 v[76:79], a[162:163], a[58:59], v[76:79]// 0000000038C4: D3E1004C 1D3275A2
	v_mfma_f32_16x16x16_bf16 v[76:79], a[164:165], a[60:61], v[76:79]// 0000000038CC: D3E1004C 1D3279A4
	v_mfma_f32_16x16x16_bf16 v[76:79], a[166:167], a[62:63], v[76:79]// 0000000038D4: D3E1004C 1D327DA6
	v_mfma_f32_16x16x16_bf16 v[80:83], a[160:161], a[64:65], v[80:83]// 0000000038DC: D3E10050 1D4281A0
	v_mfma_f32_16x16x16_bf16 v[80:83], a[162:163], a[66:67], v[80:83]// 0000000038E4: D3E10050 1D4285A2
	v_mfma_f32_16x16x16_bf16 v[80:83], a[164:165], a[68:69], v[80:83]// 0000000038EC: D3E10050 1D4289A4
	v_mfma_f32_16x16x16_bf16 v[80:83], a[166:167], a[70:71], v[80:83]// 0000000038F4: D3E10050 1D428DA6
	v_mfma_f32_16x16x16_bf16 v[84:87], a[160:161], a[72:73], v[84:87]// 0000000038FC: D3E10054 1D5291A0
	v_mfma_f32_16x16x16_bf16 v[84:87], a[162:163], a[74:75], v[84:87]// 000000003904: D3E10054 1D5295A2
	v_mfma_f32_16x16x16_bf16 v[84:87], a[164:165], a[76:77], v[84:87]// 00000000390C: D3E10054 1D5299A4
	v_mfma_f32_16x16x16_bf16 v[84:87], a[166:167], a[78:79], v[84:87]// 000000003914: D3E10054 1D529DA6
	s_addk_i32 s33, 0x40                                       // 00000000391C: B7210040
	s_cmp_lt_i32 s33, s34                                      // 000000003920: BF042221
	s_cbranch_scc0 label_0D80                                  // 000000003924: BF840976
	s_waitcnt vmcnt(22) lgkmcnt(0)                             // 000000003928: BF8C4076
	s_barrier                                                  // 00000000392C: BF8A0000
	v_mfma_f32_16x16x16_bf16 v[48:51], a[168:169], a[80:81], v[48:51]// 000000003930: D3E10030 1CC2A1A8
	s_add_u32 m0, 0, s43                                       // 000000003938: 807C2B80
	buffer_load_dword v23, s[4:7], 0 offen lds                 // 00000000393C: E0511000 80010017
	v_mfma_f32_16x16x16_bf16 v[48:51], a[170:171], a[82:83], v[48:51]// 000000003944: D3E10030 1CC2A5AA
	s_add_u32 m0, 0x100, s43                                   // 00000000394C: 807C2BFF 00000100
	buffer_load_dword v24, s[4:7], 0 offen lds                 // 000000003954: E0511000 80010018
	ds_read_b128 a[0:3], v43 offset:41216                      // 00000000395C: DBFEA100 0000002B
	ds_read_b128 a[4:7], v43 offset:41280                      // 000000003964: DBFEA140 0400002B
	v_mfma_f32_16x16x16_bf16 v[48:51], a[172:173], a[84:85], v[48:51]// 00000000396C: D3E10030 1CC2A9AC
	s_add_u32 m0, 0x200, s43                                   // 000000003974: 807C2BFF 00000200
	buffer_load_dword v25, s[4:7], 0 offen lds                 // 00000000397C: E0511000 80010019
	v_mfma_f32_16x16x16_bf16 v[48:51], a[174:175], a[86:87], v[48:51]// 000000003984: D3E10030 1CC2ADAE
	s_add_u32 m0, 0x300, s43                                   // 00000000398C: 807C2BFF 00000300
	buffer_load_dword v26, s[4:7], 0 offen lds                 // 000000003994: E0511000 8001001A
	ds_read_b128 a[8:11], v43 offset:41728                     // 00000000399C: DBFEA300 0800002B
	ds_read_b128 a[12:15], v43 offset:41792                    // 0000000039A4: DBFEA340 0C00002B
	v_mfma_f32_16x16x16_bf16 v[52:55], a[168:169], a[88:89], v[52:55]// 0000000039AC: D3E10034 1CD2B1A8
	s_add_u32 m0, 0x400, s43                                   // 0000000039B4: 807C2BFF 00000400
	buffer_load_dword v27, s[4:7], 0 offen lds                 // 0000000039BC: E0511000 8001001B
	v_mfma_f32_16x16x16_bf16 v[52:55], a[170:171], a[90:91], v[52:55]// 0000000039C4: D3E10034 1CD2B5AA
	s_add_u32 m0, 0x500, s43                                   // 0000000039CC: 807C2BFF 00000500
	buffer_load_dword v28, s[4:7], 0 offen lds                 // 0000000039D4: E0511000 8001001C
	ds_read_b128 a[16:19], v43 offset:42240                    // 0000000039DC: DBFEA500 1000002B
	ds_read_b128 a[20:23], v43 offset:42304                    // 0000000039E4: DBFEA540 1400002B
	v_mfma_f32_16x16x16_bf16 v[52:55], a[172:173], a[92:93], v[52:55]// 0000000039EC: D3E10034 1CD2B9AC
	s_add_u32 m0, 0x600, s43                                   // 0000000039F4: 807C2BFF 00000600
	buffer_load_dword v29, s[4:7], 0 offen lds                 // 0000000039FC: E0511000 8001001D
	v_mfma_f32_16x16x16_bf16 v[52:55], a[174:175], a[94:95], v[52:55]// 000000003A04: D3E10034 1CD2BDAE
	s_add_u32 m0, 0x700, s43                                   // 000000003A0C: 807C2BFF 00000700
	buffer_load_dword v30, s[4:7], 0 offen lds                 // 000000003A14: E0511000 8001001E
	ds_read_b128 a[24:27], v43 offset:42752                    // 000000003A1C: DBFEA700 1800002B
	ds_read_b128 a[28:31], v43 offset:42816                    // 000000003A24: DBFEA740 1C00002B
	v_mfma_f32_16x16x16_bf16 v[56:59], a[168:169], a[96:97], v[56:59]// 000000003A2C: D3E10038 1CE2C1A8
	s_add_u32 m0, 0x800, s43                                   // 000000003A34: 807C2BFF 00000800
	buffer_load_dword v31, s[4:7], 0 offen lds                 // 000000003A3C: E0511000 8001001F
	v_mfma_f32_16x16x16_bf16 v[56:59], a[170:171], a[98:99], v[56:59]// 000000003A44: D3E10038 1CE2C5AA
	s_add_u32 m0, 0x900, s43                                   // 000000003A4C: 807C2BFF 00000900
	buffer_load_dword v32, s[4:7], 0 offen lds                 // 000000003A54: E0511000 80010020
	ds_read_b128 a[32:35], v43 offset:43264                    // 000000003A5C: DBFEA900 2000002B
	ds_read_b128 a[36:39], v43 offset:43328                    // 000000003A64: DBFEA940 2400002B
	v_mfma_f32_16x16x16_bf16 v[56:59], a[172:173], a[100:101], v[56:59]// 000000003A6C: D3E10038 1CE2C9AC
	s_add_u32 m0, 0xa00, s43                                   // 000000003A74: 807C2BFF 00000A00
	buffer_load_dword v33, s[4:7], 0 offen lds                 // 000000003A7C: E0511000 80010021
	v_mfma_f32_16x16x16_bf16 v[56:59], a[174:175], a[102:103], v[56:59]// 000000003A84: D3E10038 1CE2CDAE
	s_add_u32 m0, 0xb00, s43                                   // 000000003A8C: 807C2BFF 00000B00
	buffer_load_dword v34, s[4:7], 0 offen lds                 // 000000003A94: E0511000 80010022
	ds_read_b128 a[40:43], v43 offset:43776                    // 000000003A9C: DBFEAB00 2800002B
	ds_read_b128 a[44:47], v43 offset:43840                    // 000000003AA4: DBFEAB40 2C00002B
	v_mfma_f32_16x16x16_bf16 v[60:63], a[168:169], a[104:105], v[60:63]// 000000003AAC: D3E1003C 1CF2D1A8
	s_add_u32 m0, 0xc00, s43                                   // 000000003AB4: 807C2BFF 00000C00
	buffer_load_dword v35, s[4:7], 0 offen lds                 // 000000003ABC: E0511000 80010023
	v_mfma_f32_16x16x16_bf16 v[60:63], a[170:171], a[106:107], v[60:63]// 000000003AC4: D3E1003C 1CF2D5AA
	s_add_u32 m0, 0xd00, s43                                   // 000000003ACC: 807C2BFF 00000D00
	buffer_load_dword v36, s[4:7], 0 offen lds                 // 000000003AD4: E0511000 80010024
	ds_read_b128 a[48:51], v43 offset:44288                    // 000000003ADC: DBFEAD00 3000002B
	ds_read_b128 a[52:55], v43 offset:44352                    // 000000003AE4: DBFEAD40 3400002B
	v_mfma_f32_16x16x16_bf16 v[60:63], a[172:173], a[108:109], v[60:63]// 000000003AEC: D3E1003C 1CF2D9AC
	s_add_u32 m0, 0xe00, s43                                   // 000000003AF4: 807C2BFF 00000E00
	buffer_load_dword v37, s[4:7], 0 offen lds                 // 000000003AFC: E0511000 80010025
	v_mfma_f32_16x16x16_bf16 v[60:63], a[174:175], a[110:111], v[60:63]// 000000003B04: D3E1003C 1CF2DDAE
	s_add_u32 m0, 0xf00, s43                                   // 000000003B0C: 807C2BFF 00000F00
	buffer_load_dword v38, s[4:7], 0 offen lds                 // 000000003B14: E0511000 80010026
	ds_read_b128 a[56:59], v43 offset:44800                    // 000000003B1C: DBFEAF00 3800002B
	ds_read_b128 a[60:63], v43 offset:44864                    // 000000003B24: DBFEAF40 3C00002B
	v_mfma_f32_16x16x16_bf16 v[64:67], a[168:169], a[112:113], v[64:67]// 000000003B2C: D3E10040 1D02E1A8
	s_add_u32 m0, 0x1000, s43                                  // 000000003B34: 807C2BFF 00001000
	buffer_load_dword v39, s[4:7], 0 offen lds                 // 000000003B3C: E0511000 80010027
	v_mfma_f32_16x16x16_bf16 v[64:67], a[170:171], a[114:115], v[64:67]// 000000003B44: D3E10040 1D02E5AA
	s_add_u32 m0, 0x1100, s43                                  // 000000003B4C: 807C2BFF 00001100
	buffer_load_dword v40, s[4:7], 0 offen lds                 // 000000003B54: E0511000 80010028
	ds_read_b128 a[64:67], v43 offset:45312                    // 000000003B5C: DBFEB100 4000002B
	ds_read_b128 a[68:71], v43 offset:45376                    // 000000003B64: DBFEB140 4400002B
	v_mfma_f32_16x16x16_bf16 v[64:67], a[172:173], a[116:117], v[64:67]// 000000003B6C: D3E10040 1D02E9AC
	s_add_u32 m0, 0x1200, s43                                  // 000000003B74: 807C2BFF 00001200
	buffer_load_dword v41, s[4:7], 0 offen lds                 // 000000003B7C: E0511000 80010029
	v_mfma_f32_16x16x16_bf16 v[64:67], a[174:175], a[118:119], v[64:67]// 000000003B84: D3E10040 1D02EDAE
	s_add_u32 m0, 0x1300, s43                                  // 000000003B8C: 807C2BFF 00001300
	buffer_load_dword v42, s[4:7], 0 offen lds                 // 000000003B94: E0511000 8001002A
	ds_read_b128 a[72:75], v43 offset:45824                    // 000000003B9C: DBFEB300 4800002B
	ds_read_b128 a[76:79], v43 offset:45888                    // 000000003BA4: DBFEB340 4C00002B
	v_mfma_f32_16x16x16_bf16 v[68:71], a[168:169], a[120:121], v[68:71]// 000000003BAC: D3E10044 1D12F1A8
	s_add_u32 s31, 0x100, s33                                  // 000000003BB4: 801F21FF 00000100
	s_cmp_lt_u32 s31, s34                                      // 000000003BBC: BF0A221F
	s_cselect_b32 s40, s40, 0                                  // 000000003BC0: 85288028
	buffer_load_dwordx4 a[160:163], v44, s[8:11], 0 offen      // 000000003BC4: E05C1000 8082A02C
	v_mfma_f32_16x16x16_bf16 v[68:71], a[170:171], a[122:123], v[68:71]// 000000003BCC: D3E10044 1D12F5AA
	buffer_load_dwordx4 a[164:167], v45, s[8:11], 0 offen      // 000000003BD4: E05C1000 8082A42D
	s_add_u32 s4, s40, s4                                      // 000000003BDC: 80040428
	s_addc_u32 s5, 0, s5                                       // 000000003BE0: 82050580
	v_mfma_f32_16x16x16_bf16 v[68:71], a[172:173], a[124:125], v[68:71]// 000000003BE4: D3E10044 1D12F9AC
	s_add_u32 s31, 0xc0, s33                                   // 000000003BEC: 801F21FF 000000C0
	s_cmp_lt_u32 s31, s34                                      // 000000003BF4: BF0A221F
	s_cselect_b32 s41, s41, 0                                  // 000000003BF8: 85298029
	v_mfma_f32_16x16x16_bf16 v[68:71], a[174:175], a[126:127], v[68:71]// 000000003BFC: D3E10044 1D12FDAE
	s_add_u32 s8, s41, s8                                      // 000000003C04: 80080829
	s_addc_u32 s9, 0, s9                                       // 000000003C08: 82090980
	v_mfma_f32_16x16x16_bf16 v[72:75], a[168:169], a[128:129], v[72:75]// 000000003C0C: D3E10048 1D2301A8
	v_mfma_f32_16x16x16_bf16 v[72:75], a[170:171], a[130:131], v[72:75]// 000000003C14: D3E10048 1D2305AA
	v_mfma_f32_16x16x16_bf16 v[72:75], a[172:173], a[132:133], v[72:75]// 000000003C1C: D3E10048 1D2309AC
	v_mfma_f32_16x16x16_bf16 v[72:75], a[174:175], a[134:135], v[72:75]// 000000003C24: D3E10048 1D230DAE
	v_mfma_f32_16x16x16_bf16 v[76:79], a[168:169], a[136:137], v[76:79]// 000000003C2C: D3E1004C 1D3311A8
	v_mfma_f32_16x16x16_bf16 v[76:79], a[170:171], a[138:139], v[76:79]// 000000003C34: D3E1004C 1D3315AA
	v_mfma_f32_16x16x16_bf16 v[76:79], a[172:173], a[140:141], v[76:79]// 000000003C3C: D3E1004C 1D3319AC
	v_mfma_f32_16x16x16_bf16 v[76:79], a[174:175], a[142:143], v[76:79]// 000000003C44: D3E1004C 1D331DAE
	v_mfma_f32_16x16x16_bf16 v[80:83], a[168:169], a[144:145], v[80:83]// 000000003C4C: D3E10050 1D4321A8
	v_mfma_f32_16x16x16_bf16 v[80:83], a[170:171], a[146:147], v[80:83]// 000000003C54: D3E10050 1D4325AA
	v_mfma_f32_16x16x16_bf16 v[80:83], a[172:173], a[148:149], v[80:83]// 000000003C5C: D3E10050 1D4329AC
	v_mfma_f32_16x16x16_bf16 v[80:83], a[174:175], a[150:151], v[80:83]// 000000003C64: D3E10050 1D432DAE
	v_mfma_f32_16x16x16_bf16 v[84:87], a[168:169], a[152:153], v[84:87]// 000000003C6C: D3E10054 1D5331A8
	v_mfma_f32_16x16x16_bf16 v[84:87], a[170:171], a[154:155], v[84:87]// 000000003C74: D3E10054 1D5335AA
	v_mfma_f32_16x16x16_bf16 v[84:87], a[172:173], a[156:157], v[84:87]// 000000003C7C: D3E10054 1D5339AC
	v_mfma_f32_16x16x16_bf16 v[84:87], a[174:175], a[158:159], v[84:87]// 000000003C84: D3E10054 1D533DAE
	s_addk_i32 s33, 0x40                                       // 000000003C8C: B7210040
	s_cmp_lt_i32 s33, s34                                      // 000000003C90: BF042221
	s_cbranch_scc0 label_0D80                                  // 000000003C94: BF84089A
	s_waitcnt vmcnt(22) lgkmcnt(0)                             // 000000003C98: BF8C4076
	s_barrier                                                  // 000000003C9C: BF8A0000
	v_mfma_f32_16x16x16_bf16 v[48:51], a[176:177], a[0:1], v[48:51]// 000000003CA0: D3E10030 1CC201B0
	s_add_u32 m0, 0, s44                                       // 000000003CA8: 807C2C80
	buffer_load_dword v23, s[4:7], 0 offen lds                 // 000000003CAC: E0511000 80010017
	v_mfma_f32_16x16x16_bf16 v[48:51], a[178:179], a[2:3], v[48:51]// 000000003CB4: D3E10030 1CC205B2
	s_add_u32 m0, 0x100, s44                                   // 000000003CBC: 807C2CFF 00000100
	buffer_load_dword v24, s[4:7], 0 offen lds                 // 000000003CC4: E0511000 80010018
	ds_read_b128 a[80:83], v43                                 // 000000003CCC: DBFE0000 5000002B
	ds_read_b128 a[84:87], v43 offset:64                       // 000000003CD4: DBFE0040 5400002B
	v_mfma_f32_16x16x16_bf16 v[48:51], a[180:181], a[4:5], v[48:51]// 000000003CDC: D3E10030 1CC209B4
	s_add_u32 m0, 0x200, s44                                   // 000000003CE4: 807C2CFF 00000200
	buffer_load_dword v25, s[4:7], 0 offen lds                 // 000000003CEC: E0511000 80010019
	v_mfma_f32_16x16x16_bf16 v[48:51], a[182:183], a[6:7], v[48:51]// 000000003CF4: D3E10030 1CC20DB6
	s_add_u32 m0, 0x300, s44                                   // 000000003CFC: 807C2CFF 00000300
	buffer_load_dword v26, s[4:7], 0 offen lds                 // 000000003D04: E0511000 8001001A
	ds_read_b128 a[88:91], v43 offset:512                      // 000000003D0C: DBFE0200 5800002B
	ds_read_b128 a[92:95], v43 offset:576                      // 000000003D14: DBFE0240 5C00002B
	v_mfma_f32_16x16x16_bf16 v[52:55], a[176:177], a[8:9], v[52:55]// 000000003D1C: D3E10034 1CD211B0
	s_add_u32 m0, 0x400, s44                                   // 000000003D24: 807C2CFF 00000400
	buffer_load_dword v27, s[4:7], 0 offen lds                 // 000000003D2C: E0511000 8001001B
	v_mfma_f32_16x16x16_bf16 v[52:55], a[178:179], a[10:11], v[52:55]// 000000003D34: D3E10034 1CD215B2
	s_add_u32 m0, 0x500, s44                                   // 000000003D3C: 807C2CFF 00000500
	buffer_load_dword v28, s[4:7], 0 offen lds                 // 000000003D44: E0511000 8001001C
	ds_read_b128 a[96:99], v43 offset:1024                     // 000000003D4C: DBFE0400 6000002B
	ds_read_b128 a[100:103], v43 offset:1088                   // 000000003D54: DBFE0440 6400002B
	v_mfma_f32_16x16x16_bf16 v[52:55], a[180:181], a[12:13], v[52:55]// 000000003D5C: D3E10034 1CD219B4
	s_add_u32 m0, 0x600, s44                                   // 000000003D64: 807C2CFF 00000600
	buffer_load_dword v29, s[4:7], 0 offen lds                 // 000000003D6C: E0511000 8001001D
	v_mfma_f32_16x16x16_bf16 v[52:55], a[182:183], a[14:15], v[52:55]// 000000003D74: D3E10034 1CD21DB6
	s_add_u32 m0, 0x700, s44                                   // 000000003D7C: 807C2CFF 00000700
	buffer_load_dword v30, s[4:7], 0 offen lds                 // 000000003D84: E0511000 8001001E
	ds_read_b128 a[104:107], v43 offset:1536                   // 000000003D8C: DBFE0600 6800002B
	ds_read_b128 a[108:111], v43 offset:1600                   // 000000003D94: DBFE0640 6C00002B
	v_mfma_f32_16x16x16_bf16 v[56:59], a[176:177], a[16:17], v[56:59]// 000000003D9C: D3E10038 1CE221B0
	s_add_u32 m0, 0x800, s44                                   // 000000003DA4: 807C2CFF 00000800
	buffer_load_dword v31, s[4:7], 0 offen lds                 // 000000003DAC: E0511000 8001001F
	v_mfma_f32_16x16x16_bf16 v[56:59], a[178:179], a[18:19], v[56:59]// 000000003DB4: D3E10038 1CE225B2
	s_add_u32 m0, 0x900, s44                                   // 000000003DBC: 807C2CFF 00000900
	buffer_load_dword v32, s[4:7], 0 offen lds                 // 000000003DC4: E0511000 80010020
	ds_read_b128 a[112:115], v43 offset:2048                   // 000000003DCC: DBFE0800 7000002B
	ds_read_b128 a[116:119], v43 offset:2112                   // 000000003DD4: DBFE0840 7400002B
	v_mfma_f32_16x16x16_bf16 v[56:59], a[180:181], a[20:21], v[56:59]// 000000003DDC: D3E10038 1CE229B4
	s_add_u32 m0, 0xa00, s44                                   // 000000003DE4: 807C2CFF 00000A00
	buffer_load_dword v33, s[4:7], 0 offen lds                 // 000000003DEC: E0511000 80010021
	v_mfma_f32_16x16x16_bf16 v[56:59], a[182:183], a[22:23], v[56:59]// 000000003DF4: D3E10038 1CE22DB6
	s_add_u32 m0, 0xb00, s44                                   // 000000003DFC: 807C2CFF 00000B00
	buffer_load_dword v34, s[4:7], 0 offen lds                 // 000000003E04: E0511000 80010022
	ds_read_b128 a[120:123], v43 offset:2560                   // 000000003E0C: DBFE0A00 7800002B
	ds_read_b128 a[124:127], v43 offset:2624                   // 000000003E14: DBFE0A40 7C00002B
	v_mfma_f32_16x16x16_bf16 v[60:63], a[176:177], a[24:25], v[60:63]// 000000003E1C: D3E1003C 1CF231B0
	s_add_u32 m0, 0xc00, s44                                   // 000000003E24: 807C2CFF 00000C00
	buffer_load_dword v35, s[4:7], 0 offen lds                 // 000000003E2C: E0511000 80010023
	v_mfma_f32_16x16x16_bf16 v[60:63], a[178:179], a[26:27], v[60:63]// 000000003E34: D3E1003C 1CF235B2
	s_add_u32 m0, 0xd00, s44                                   // 000000003E3C: 807C2CFF 00000D00
	buffer_load_dword v36, s[4:7], 0 offen lds                 // 000000003E44: E0511000 80010024
	ds_read_b128 a[128:131], v43 offset:3072                   // 000000003E4C: DBFE0C00 8000002B
	ds_read_b128 a[132:135], v43 offset:3136                   // 000000003E54: DBFE0C40 8400002B
	v_mfma_f32_16x16x16_bf16 v[60:63], a[180:181], a[28:29], v[60:63]// 000000003E5C: D3E1003C 1CF239B4
	s_add_u32 m0, 0xe00, s44                                   // 000000003E64: 807C2CFF 00000E00
	buffer_load_dword v37, s[4:7], 0 offen lds                 // 000000003E6C: E0511000 80010025
	v_mfma_f32_16x16x16_bf16 v[60:63], a[182:183], a[30:31], v[60:63]// 000000003E74: D3E1003C 1CF23DB6
	s_add_u32 m0, 0xf00, s44                                   // 000000003E7C: 807C2CFF 00000F00
	buffer_load_dword v38, s[4:7], 0 offen lds                 // 000000003E84: E0511000 80010026
	ds_read_b128 a[136:139], v43 offset:3584                   // 000000003E8C: DBFE0E00 8800002B
	ds_read_b128 a[140:143], v43 offset:3648                   // 000000003E94: DBFE0E40 8C00002B
	v_mfma_f32_16x16x16_bf16 v[64:67], a[176:177], a[32:33], v[64:67]// 000000003E9C: D3E10040 1D0241B0
	s_add_u32 m0, 0x1000, s44                                  // 000000003EA4: 807C2CFF 00001000
	buffer_load_dword v39, s[4:7], 0 offen lds                 // 000000003EAC: E0511000 80010027
	v_mfma_f32_16x16x16_bf16 v[64:67], a[178:179], a[34:35], v[64:67]// 000000003EB4: D3E10040 1D0245B2
	s_add_u32 m0, 0x1100, s44                                  // 000000003EBC: 807C2CFF 00001100
	buffer_load_dword v40, s[4:7], 0 offen lds                 // 000000003EC4: E0511000 80010028
	ds_read_b128 a[144:147], v43 offset:4096                   // 000000003ECC: DBFE1000 9000002B
	ds_read_b128 a[148:151], v43 offset:4160                   // 000000003ED4: DBFE1040 9400002B
	v_mfma_f32_16x16x16_bf16 v[64:67], a[180:181], a[36:37], v[64:67]// 000000003EDC: D3E10040 1D0249B4
	s_add_u32 m0, 0x1200, s44                                  // 000000003EE4: 807C2CFF 00001200
	buffer_load_dword v41, s[4:7], 0 offen lds                 // 000000003EEC: E0511000 80010029
	v_mfma_f32_16x16x16_bf16 v[64:67], a[182:183], a[38:39], v[64:67]// 000000003EF4: D3E10040 1D024DB6
	s_add_u32 m0, 0x1300, s44                                  // 000000003EFC: 807C2CFF 00001300
	buffer_load_dword v42, s[4:7], 0 offen lds                 // 000000003F04: E0511000 8001002A
	ds_read_b128 a[152:155], v43 offset:4608                   // 000000003F0C: DBFE1200 9800002B
	ds_read_b128 a[156:159], v43 offset:4672                   // 000000003F14: DBFE1240 9C00002B
	v_mfma_f32_16x16x16_bf16 v[68:71], a[176:177], a[40:41], v[68:71]// 000000003F1C: D3E10044 1D1251B0
	s_add_u32 s31, 0x100, s33                                  // 000000003F24: 801F21FF 00000100
	s_cmp_lt_u32 s31, s34                                      // 000000003F2C: BF0A221F
	s_cselect_b32 s40, s40, 0                                  // 000000003F30: 85288028
	buffer_load_dwordx4 a[168:171], v44, s[8:11], 0 offen      // 000000003F34: E05C1000 8082A82C
	v_mfma_f32_16x16x16_bf16 v[68:71], a[178:179], a[42:43], v[68:71]// 000000003F3C: D3E10044 1D1255B2
	buffer_load_dwordx4 a[172:175], v45, s[8:11], 0 offen      // 000000003F44: E05C1000 8082AC2D
	s_add_u32 s4, s40, s4                                      // 000000003F4C: 80040428
	s_addc_u32 s5, 0, s5                                       // 000000003F50: 82050580
	v_mfma_f32_16x16x16_bf16 v[68:71], a[180:181], a[44:45], v[68:71]// 000000003F54: D3E10044 1D1259B4
	s_add_u32 s31, 0xc0, s33                                   // 000000003F5C: 801F21FF 000000C0
	s_cmp_lt_u32 s31, s34                                      // 000000003F64: BF0A221F
	s_cselect_b32 s41, s41, 0                                  // 000000003F68: 85298029
	v_mfma_f32_16x16x16_bf16 v[68:71], a[182:183], a[46:47], v[68:71]// 000000003F6C: D3E10044 1D125DB6
	s_add_u32 s8, s41, s8                                      // 000000003F74: 80080829
	s_addc_u32 s9, 0, s9                                       // 000000003F78: 82090980
	v_mfma_f32_16x16x16_bf16 v[72:75], a[176:177], a[48:49], v[72:75]// 000000003F7C: D3E10048 1D2261B0
	v_mfma_f32_16x16x16_bf16 v[72:75], a[178:179], a[50:51], v[72:75]// 000000003F84: D3E10048 1D2265B2
	v_mfma_f32_16x16x16_bf16 v[72:75], a[180:181], a[52:53], v[72:75]// 000000003F8C: D3E10048 1D2269B4
	v_mfma_f32_16x16x16_bf16 v[72:75], a[182:183], a[54:55], v[72:75]// 000000003F94: D3E10048 1D226DB6
	v_mfma_f32_16x16x16_bf16 v[76:79], a[176:177], a[56:57], v[76:79]// 000000003F9C: D3E1004C 1D3271B0
	v_mfma_f32_16x16x16_bf16 v[76:79], a[178:179], a[58:59], v[76:79]// 000000003FA4: D3E1004C 1D3275B2
	v_mfma_f32_16x16x16_bf16 v[76:79], a[180:181], a[60:61], v[76:79]// 000000003FAC: D3E1004C 1D3279B4
	v_mfma_f32_16x16x16_bf16 v[76:79], a[182:183], a[62:63], v[76:79]// 000000003FB4: D3E1004C 1D327DB6
	v_mfma_f32_16x16x16_bf16 v[80:83], a[176:177], a[64:65], v[80:83]// 000000003FBC: D3E10050 1D4281B0
	v_mfma_f32_16x16x16_bf16 v[80:83], a[178:179], a[66:67], v[80:83]// 000000003FC4: D3E10050 1D4285B2
	v_mfma_f32_16x16x16_bf16 v[80:83], a[180:181], a[68:69], v[80:83]// 000000003FCC: D3E10050 1D4289B4
	v_mfma_f32_16x16x16_bf16 v[80:83], a[182:183], a[70:71], v[80:83]// 000000003FD4: D3E10050 1D428DB6
	v_mfma_f32_16x16x16_bf16 v[84:87], a[176:177], a[72:73], v[84:87]// 000000003FDC: D3E10054 1D5291B0
	v_mfma_f32_16x16x16_bf16 v[84:87], a[178:179], a[74:75], v[84:87]// 000000003FE4: D3E10054 1D5295B2
	v_mfma_f32_16x16x16_bf16 v[84:87], a[180:181], a[76:77], v[84:87]// 000000003FEC: D3E10054 1D5299B4
	v_mfma_f32_16x16x16_bf16 v[84:87], a[182:183], a[78:79], v[84:87]// 000000003FF4: D3E10054 1D529DB6
	s_addk_i32 s33, 0x40                                       // 000000003FFC: B7210040
	s_cmp_lt_i32 s33, s34                                      // 000000004000: BF042221
	s_cbranch_scc0 label_0D80                                  // 000000004004: BF8407BE
	s_waitcnt vmcnt(22) lgkmcnt(0)                             // 000000004008: BF8C4076
	s_barrier                                                  // 00000000400C: BF8A0000
	v_mfma_f32_16x16x16_bf16 v[48:51], a[160:161], a[80:81], v[48:51]// 000000004010: D3E10030 1CC2A1A0
	s_add_u32 m0, 0, s42                                       // 000000004018: 807C2A80
	buffer_load_dword v23, s[4:7], 0 offen lds                 // 00000000401C: E0511000 80010017
	v_mfma_f32_16x16x16_bf16 v[48:51], a[162:163], a[82:83], v[48:51]// 000000004024: D3E10030 1CC2A5A2
	s_add_u32 m0, 0x100, s42                                   // 00000000402C: 807C2AFF 00000100
	buffer_load_dword v24, s[4:7], 0 offen lds                 // 000000004034: E0511000 80010018
	ds_read_b128 a[0:3], v43 offset:20608                      // 00000000403C: DBFE5080 0000002B
	ds_read_b128 a[4:7], v43 offset:20672                      // 000000004044: DBFE50C0 0400002B
	v_mfma_f32_16x16x16_bf16 v[48:51], a[164:165], a[84:85], v[48:51]// 00000000404C: D3E10030 1CC2A9A4
	s_add_u32 m0, 0x200, s42                                   // 000000004054: 807C2AFF 00000200
	buffer_load_dword v25, s[4:7], 0 offen lds                 // 00000000405C: E0511000 80010019
	v_mfma_f32_16x16x16_bf16 v[48:51], a[166:167], a[86:87], v[48:51]// 000000004064: D3E10030 1CC2ADA6
	s_add_u32 m0, 0x300, s42                                   // 00000000406C: 807C2AFF 00000300
	buffer_load_dword v26, s[4:7], 0 offen lds                 // 000000004074: E0511000 8001001A
	ds_read_b128 a[8:11], v43 offset:21120                     // 00000000407C: DBFE5280 0800002B
	ds_read_b128 a[12:15], v43 offset:21184                    // 000000004084: DBFE52C0 0C00002B
	v_mfma_f32_16x16x16_bf16 v[52:55], a[160:161], a[88:89], v[52:55]// 00000000408C: D3E10034 1CD2B1A0
	s_add_u32 m0, 0x400, s42                                   // 000000004094: 807C2AFF 00000400
	buffer_load_dword v27, s[4:7], 0 offen lds                 // 00000000409C: E0511000 8001001B
	v_mfma_f32_16x16x16_bf16 v[52:55], a[162:163], a[90:91], v[52:55]// 0000000040A4: D3E10034 1CD2B5A2
	s_add_u32 m0, 0x500, s42                                   // 0000000040AC: 807C2AFF 00000500
	buffer_load_dword v28, s[4:7], 0 offen lds                 // 0000000040B4: E0511000 8001001C
	ds_read_b128 a[16:19], v43 offset:21632                    // 0000000040BC: DBFE5480 1000002B
	ds_read_b128 a[20:23], v43 offset:21696                    // 0000000040C4: DBFE54C0 1400002B
	v_mfma_f32_16x16x16_bf16 v[52:55], a[164:165], a[92:93], v[52:55]// 0000000040CC: D3E10034 1CD2B9A4
	s_add_u32 m0, 0x600, s42                                   // 0000000040D4: 807C2AFF 00000600
	buffer_load_dword v29, s[4:7], 0 offen lds                 // 0000000040DC: E0511000 8001001D
	v_mfma_f32_16x16x16_bf16 v[52:55], a[166:167], a[94:95], v[52:55]// 0000000040E4: D3E10034 1CD2BDA6
	s_add_u32 m0, 0x700, s42                                   // 0000000040EC: 807C2AFF 00000700
	buffer_load_dword v30, s[4:7], 0 offen lds                 // 0000000040F4: E0511000 8001001E
	ds_read_b128 a[24:27], v43 offset:22144                    // 0000000040FC: DBFE5680 1800002B
	ds_read_b128 a[28:31], v43 offset:22208                    // 000000004104: DBFE56C0 1C00002B
	v_mfma_f32_16x16x16_bf16 v[56:59], a[160:161], a[96:97], v[56:59]// 00000000410C: D3E10038 1CE2C1A0
	s_add_u32 m0, 0x800, s42                                   // 000000004114: 807C2AFF 00000800
	buffer_load_dword v31, s[4:7], 0 offen lds                 // 00000000411C: E0511000 8001001F
	v_mfma_f32_16x16x16_bf16 v[56:59], a[162:163], a[98:99], v[56:59]// 000000004124: D3E10038 1CE2C5A2
	s_add_u32 m0, 0x900, s42                                   // 00000000412C: 807C2AFF 00000900
	buffer_load_dword v32, s[4:7], 0 offen lds                 // 000000004134: E0511000 80010020
	ds_read_b128 a[32:35], v43 offset:22656                    // 00000000413C: DBFE5880 2000002B
	ds_read_b128 a[36:39], v43 offset:22720                    // 000000004144: DBFE58C0 2400002B
	v_mfma_f32_16x16x16_bf16 v[56:59], a[164:165], a[100:101], v[56:59]// 00000000414C: D3E10038 1CE2C9A4
	s_add_u32 m0, 0xa00, s42                                   // 000000004154: 807C2AFF 00000A00
	buffer_load_dword v33, s[4:7], 0 offen lds                 // 00000000415C: E0511000 80010021
	v_mfma_f32_16x16x16_bf16 v[56:59], a[166:167], a[102:103], v[56:59]// 000000004164: D3E10038 1CE2CDA6
	s_add_u32 m0, 0xb00, s42                                   // 00000000416C: 807C2AFF 00000B00
	buffer_load_dword v34, s[4:7], 0 offen lds                 // 000000004174: E0511000 80010022
	ds_read_b128 a[40:43], v43 offset:23168                    // 00000000417C: DBFE5A80 2800002B
	ds_read_b128 a[44:47], v43 offset:23232                    // 000000004184: DBFE5AC0 2C00002B
	v_mfma_f32_16x16x16_bf16 v[60:63], a[160:161], a[104:105], v[60:63]// 00000000418C: D3E1003C 1CF2D1A0
	s_add_u32 m0, 0xc00, s42                                   // 000000004194: 807C2AFF 00000C00
	buffer_load_dword v35, s[4:7], 0 offen lds                 // 00000000419C: E0511000 80010023
	v_mfma_f32_16x16x16_bf16 v[60:63], a[162:163], a[106:107], v[60:63]// 0000000041A4: D3E1003C 1CF2D5A2
	s_add_u32 m0, 0xd00, s42                                   // 0000000041AC: 807C2AFF 00000D00
	buffer_load_dword v36, s[4:7], 0 offen lds                 // 0000000041B4: E0511000 80010024
	ds_read_b128 a[48:51], v43 offset:23680                    // 0000000041BC: DBFE5C80 3000002B
	ds_read_b128 a[52:55], v43 offset:23744                    // 0000000041C4: DBFE5CC0 3400002B
	v_mfma_f32_16x16x16_bf16 v[60:63], a[164:165], a[108:109], v[60:63]// 0000000041CC: D3E1003C 1CF2D9A4
	s_add_u32 m0, 0xe00, s42                                   // 0000000041D4: 807C2AFF 00000E00
	buffer_load_dword v37, s[4:7], 0 offen lds                 // 0000000041DC: E0511000 80010025
	v_mfma_f32_16x16x16_bf16 v[60:63], a[166:167], a[110:111], v[60:63]// 0000000041E4: D3E1003C 1CF2DDA6
	s_add_u32 m0, 0xf00, s42                                   // 0000000041EC: 807C2AFF 00000F00
	buffer_load_dword v38, s[4:7], 0 offen lds                 // 0000000041F4: E0511000 80010026
	ds_read_b128 a[56:59], v43 offset:24192                    // 0000000041FC: DBFE5E80 3800002B
	ds_read_b128 a[60:63], v43 offset:24256                    // 000000004204: DBFE5EC0 3C00002B
	v_mfma_f32_16x16x16_bf16 v[64:67], a[160:161], a[112:113], v[64:67]// 00000000420C: D3E10040 1D02E1A0
	s_add_u32 m0, 0x1000, s42                                  // 000000004214: 807C2AFF 00001000
	buffer_load_dword v39, s[4:7], 0 offen lds                 // 00000000421C: E0511000 80010027
	v_mfma_f32_16x16x16_bf16 v[64:67], a[162:163], a[114:115], v[64:67]// 000000004224: D3E10040 1D02E5A2
	s_add_u32 m0, 0x1100, s42                                  // 00000000422C: 807C2AFF 00001100
	buffer_load_dword v40, s[4:7], 0 offen lds                 // 000000004234: E0511000 80010028
	ds_read_b128 a[64:67], v43 offset:24704                    // 00000000423C: DBFE6080 4000002B
	ds_read_b128 a[68:71], v43 offset:24768                    // 000000004244: DBFE60C0 4400002B
	v_mfma_f32_16x16x16_bf16 v[64:67], a[164:165], a[116:117], v[64:67]// 00000000424C: D3E10040 1D02E9A4
	s_add_u32 m0, 0x1200, s42                                  // 000000004254: 807C2AFF 00001200
	buffer_load_dword v41, s[4:7], 0 offen lds                 // 00000000425C: E0511000 80010029
	v_mfma_f32_16x16x16_bf16 v[64:67], a[166:167], a[118:119], v[64:67]// 000000004264: D3E10040 1D02EDA6
	s_add_u32 m0, 0x1300, s42                                  // 00000000426C: 807C2AFF 00001300
	buffer_load_dword v42, s[4:7], 0 offen lds                 // 000000004274: E0511000 8001002A
	ds_read_b128 a[72:75], v43 offset:25216                    // 00000000427C: DBFE6280 4800002B
	ds_read_b128 a[76:79], v43 offset:25280                    // 000000004284: DBFE62C0 4C00002B
	v_mfma_f32_16x16x16_bf16 v[68:71], a[160:161], a[120:121], v[68:71]// 00000000428C: D3E10044 1D12F1A0
	s_add_u32 s31, 0x100, s33                                  // 000000004294: 801F21FF 00000100
	s_cmp_lt_u32 s31, s34                                      // 00000000429C: BF0A221F
	s_cselect_b32 s40, s40, 0                                  // 0000000042A0: 85288028
	buffer_load_dwordx4 a[176:179], v44, s[8:11], 0 offen      // 0000000042A4: E05C1000 8082B02C
	v_mfma_f32_16x16x16_bf16 v[68:71], a[162:163], a[122:123], v[68:71]// 0000000042AC: D3E10044 1D12F5A2
	buffer_load_dwordx4 a[180:183], v45, s[8:11], 0 offen      // 0000000042B4: E05C1000 8082B42D
	s_add_u32 s4, s40, s4                                      // 0000000042BC: 80040428
	s_addc_u32 s5, 0, s5                                       // 0000000042C0: 82050580
	v_mfma_f32_16x16x16_bf16 v[68:71], a[164:165], a[124:125], v[68:71]// 0000000042C4: D3E10044 1D12F9A4
	s_add_u32 s31, 0xc0, s33                                   // 0000000042CC: 801F21FF 000000C0
	s_cmp_lt_u32 s31, s34                                      // 0000000042D4: BF0A221F
	s_cselect_b32 s41, s41, 0                                  // 0000000042D8: 85298029
	v_mfma_f32_16x16x16_bf16 v[68:71], a[166:167], a[126:127], v[68:71]// 0000000042DC: D3E10044 1D12FDA6
	s_add_u32 s8, s41, s8                                      // 0000000042E4: 80080829
	s_addc_u32 s9, 0, s9                                       // 0000000042E8: 82090980
	v_mfma_f32_16x16x16_bf16 v[72:75], a[160:161], a[128:129], v[72:75]// 0000000042EC: D3E10048 1D2301A0
	v_mfma_f32_16x16x16_bf16 v[72:75], a[162:163], a[130:131], v[72:75]// 0000000042F4: D3E10048 1D2305A2
	v_mfma_f32_16x16x16_bf16 v[72:75], a[164:165], a[132:133], v[72:75]// 0000000042FC: D3E10048 1D2309A4
	v_mfma_f32_16x16x16_bf16 v[72:75], a[166:167], a[134:135], v[72:75]// 000000004304: D3E10048 1D230DA6
	v_mfma_f32_16x16x16_bf16 v[76:79], a[160:161], a[136:137], v[76:79]// 00000000430C: D3E1004C 1D3311A0
	v_mfma_f32_16x16x16_bf16 v[76:79], a[162:163], a[138:139], v[76:79]// 000000004314: D3E1004C 1D3315A2
	v_mfma_f32_16x16x16_bf16 v[76:79], a[164:165], a[140:141], v[76:79]// 00000000431C: D3E1004C 1D3319A4
	v_mfma_f32_16x16x16_bf16 v[76:79], a[166:167], a[142:143], v[76:79]// 000000004324: D3E1004C 1D331DA6
	v_mfma_f32_16x16x16_bf16 v[80:83], a[160:161], a[144:145], v[80:83]// 00000000432C: D3E10050 1D4321A0
	v_mfma_f32_16x16x16_bf16 v[80:83], a[162:163], a[146:147], v[80:83]// 000000004334: D3E10050 1D4325A2
	v_mfma_f32_16x16x16_bf16 v[80:83], a[164:165], a[148:149], v[80:83]// 00000000433C: D3E10050 1D4329A4
	v_mfma_f32_16x16x16_bf16 v[80:83], a[166:167], a[150:151], v[80:83]// 000000004344: D3E10050 1D432DA6
	v_mfma_f32_16x16x16_bf16 v[84:87], a[160:161], a[152:153], v[84:87]// 00000000434C: D3E10054 1D5331A0
	v_mfma_f32_16x16x16_bf16 v[84:87], a[162:163], a[154:155], v[84:87]// 000000004354: D3E10054 1D5335A2
	v_mfma_f32_16x16x16_bf16 v[84:87], a[164:165], a[156:157], v[84:87]// 00000000435C: D3E10054 1D5339A4
	v_mfma_f32_16x16x16_bf16 v[84:87], a[166:167], a[158:159], v[84:87]// 000000004364: D3E10054 1D533DA6
	s_addk_i32 s33, 0x40                                       // 00000000436C: B7210040
	s_cmp_lt_i32 s33, s34                                      // 000000004370: BF042221
	s_cbranch_scc0 label_0D80                                  // 000000004374: BF8406E2
	s_waitcnt vmcnt(22) lgkmcnt(0)                             // 000000004378: BF8C4076
	s_barrier                                                  // 00000000437C: BF8A0000
	v_mfma_f32_16x16x16_bf16 v[48:51], a[168:169], a[0:1], v[48:51]// 000000004380: D3E10030 1CC201A8
	s_add_u32 m0, 0, s43                                       // 000000004388: 807C2B80
	buffer_load_dword v23, s[4:7], 0 offen lds                 // 00000000438C: E0511000 80010017
	v_mfma_f32_16x16x16_bf16 v[48:51], a[170:171], a[2:3], v[48:51]// 000000004394: D3E10030 1CC205AA
	s_add_u32 m0, 0x100, s43                                   // 00000000439C: 807C2BFF 00000100
	buffer_load_dword v24, s[4:7], 0 offen lds                 // 0000000043A4: E0511000 80010018
	ds_read_b128 a[80:83], v43 offset:41216                    // 0000000043AC: DBFEA100 5000002B
	ds_read_b128 a[84:87], v43 offset:41280                    // 0000000043B4: DBFEA140 5400002B
	v_mfma_f32_16x16x16_bf16 v[48:51], a[172:173], a[4:5], v[48:51]// 0000000043BC: D3E10030 1CC209AC
	s_add_u32 m0, 0x200, s43                                   // 0000000043C4: 807C2BFF 00000200
	buffer_load_dword v25, s[4:7], 0 offen lds                 // 0000000043CC: E0511000 80010019
	v_mfma_f32_16x16x16_bf16 v[48:51], a[174:175], a[6:7], v[48:51]// 0000000043D4: D3E10030 1CC20DAE
	s_add_u32 m0, 0x300, s43                                   // 0000000043DC: 807C2BFF 00000300
	buffer_load_dword v26, s[4:7], 0 offen lds                 // 0000000043E4: E0511000 8001001A
	ds_read_b128 a[88:91], v43 offset:41728                    // 0000000043EC: DBFEA300 5800002B
	ds_read_b128 a[92:95], v43 offset:41792                    // 0000000043F4: DBFEA340 5C00002B
	v_mfma_f32_16x16x16_bf16 v[52:55], a[168:169], a[8:9], v[52:55]// 0000000043FC: D3E10034 1CD211A8
	s_add_u32 m0, 0x400, s43                                   // 000000004404: 807C2BFF 00000400
	buffer_load_dword v27, s[4:7], 0 offen lds                 // 00000000440C: E0511000 8001001B
	v_mfma_f32_16x16x16_bf16 v[52:55], a[170:171], a[10:11], v[52:55]// 000000004414: D3E10034 1CD215AA
	s_add_u32 m0, 0x500, s43                                   // 00000000441C: 807C2BFF 00000500
	buffer_load_dword v28, s[4:7], 0 offen lds                 // 000000004424: E0511000 8001001C
	ds_read_b128 a[96:99], v43 offset:42240                    // 00000000442C: DBFEA500 6000002B
	ds_read_b128 a[100:103], v43 offset:42304                  // 000000004434: DBFEA540 6400002B
	v_mfma_f32_16x16x16_bf16 v[52:55], a[172:173], a[12:13], v[52:55]// 00000000443C: D3E10034 1CD219AC
	s_add_u32 m0, 0x600, s43                                   // 000000004444: 807C2BFF 00000600
	buffer_load_dword v29, s[4:7], 0 offen lds                 // 00000000444C: E0511000 8001001D
	v_mfma_f32_16x16x16_bf16 v[52:55], a[174:175], a[14:15], v[52:55]// 000000004454: D3E10034 1CD21DAE
	s_add_u32 m0, 0x700, s43                                   // 00000000445C: 807C2BFF 00000700
	buffer_load_dword v30, s[4:7], 0 offen lds                 // 000000004464: E0511000 8001001E
	ds_read_b128 a[104:107], v43 offset:42752                  // 00000000446C: DBFEA700 6800002B
	ds_read_b128 a[108:111], v43 offset:42816                  // 000000004474: DBFEA740 6C00002B
	v_mfma_f32_16x16x16_bf16 v[56:59], a[168:169], a[16:17], v[56:59]// 00000000447C: D3E10038 1CE221A8
	s_add_u32 m0, 0x800, s43                                   // 000000004484: 807C2BFF 00000800
	buffer_load_dword v31, s[4:7], 0 offen lds                 // 00000000448C: E0511000 8001001F
	v_mfma_f32_16x16x16_bf16 v[56:59], a[170:171], a[18:19], v[56:59]// 000000004494: D3E10038 1CE225AA
	s_add_u32 m0, 0x900, s43                                   // 00000000449C: 807C2BFF 00000900
	buffer_load_dword v32, s[4:7], 0 offen lds                 // 0000000044A4: E0511000 80010020
	ds_read_b128 a[112:115], v43 offset:43264                  // 0000000044AC: DBFEA900 7000002B
	ds_read_b128 a[116:119], v43 offset:43328                  // 0000000044B4: DBFEA940 7400002B
	v_mfma_f32_16x16x16_bf16 v[56:59], a[172:173], a[20:21], v[56:59]// 0000000044BC: D3E10038 1CE229AC
	s_add_u32 m0, 0xa00, s43                                   // 0000000044C4: 807C2BFF 00000A00
	buffer_load_dword v33, s[4:7], 0 offen lds                 // 0000000044CC: E0511000 80010021
	v_mfma_f32_16x16x16_bf16 v[56:59], a[174:175], a[22:23], v[56:59]// 0000000044D4: D3E10038 1CE22DAE
	s_add_u32 m0, 0xb00, s43                                   // 0000000044DC: 807C2BFF 00000B00
	buffer_load_dword v34, s[4:7], 0 offen lds                 // 0000000044E4: E0511000 80010022
	ds_read_b128 a[120:123], v43 offset:43776                  // 0000000044EC: DBFEAB00 7800002B
	ds_read_b128 a[124:127], v43 offset:43840                  // 0000000044F4: DBFEAB40 7C00002B
	v_mfma_f32_16x16x16_bf16 v[60:63], a[168:169], a[24:25], v[60:63]// 0000000044FC: D3E1003C 1CF231A8
	s_add_u32 m0, 0xc00, s43                                   // 000000004504: 807C2BFF 00000C00
	buffer_load_dword v35, s[4:7], 0 offen lds                 // 00000000450C: E0511000 80010023
	v_mfma_f32_16x16x16_bf16 v[60:63], a[170:171], a[26:27], v[60:63]// 000000004514: D3E1003C 1CF235AA
	s_add_u32 m0, 0xd00, s43                                   // 00000000451C: 807C2BFF 00000D00
	buffer_load_dword v36, s[4:7], 0 offen lds                 // 000000004524: E0511000 80010024
	ds_read_b128 a[128:131], v43 offset:44288                  // 00000000452C: DBFEAD00 8000002B
	ds_read_b128 a[132:135], v43 offset:44352                  // 000000004534: DBFEAD40 8400002B
	v_mfma_f32_16x16x16_bf16 v[60:63], a[172:173], a[28:29], v[60:63]// 00000000453C: D3E1003C 1CF239AC
	s_add_u32 m0, 0xe00, s43                                   // 000000004544: 807C2BFF 00000E00
	buffer_load_dword v37, s[4:7], 0 offen lds                 // 00000000454C: E0511000 80010025
	v_mfma_f32_16x16x16_bf16 v[60:63], a[174:175], a[30:31], v[60:63]// 000000004554: D3E1003C 1CF23DAE
	s_add_u32 m0, 0xf00, s43                                   // 00000000455C: 807C2BFF 00000F00
	buffer_load_dword v38, s[4:7], 0 offen lds                 // 000000004564: E0511000 80010026
	ds_read_b128 a[136:139], v43 offset:44800                  // 00000000456C: DBFEAF00 8800002B
	ds_read_b128 a[140:143], v43 offset:44864                  // 000000004574: DBFEAF40 8C00002B
	v_mfma_f32_16x16x16_bf16 v[64:67], a[168:169], a[32:33], v[64:67]// 00000000457C: D3E10040 1D0241A8
	s_add_u32 m0, 0x1000, s43                                  // 000000004584: 807C2BFF 00001000
	buffer_load_dword v39, s[4:7], 0 offen lds                 // 00000000458C: E0511000 80010027
	v_mfma_f32_16x16x16_bf16 v[64:67], a[170:171], a[34:35], v[64:67]// 000000004594: D3E10040 1D0245AA
	s_add_u32 m0, 0x1100, s43                                  // 00000000459C: 807C2BFF 00001100
	buffer_load_dword v40, s[4:7], 0 offen lds                 // 0000000045A4: E0511000 80010028
	ds_read_b128 a[144:147], v43 offset:45312                  // 0000000045AC: DBFEB100 9000002B
	ds_read_b128 a[148:151], v43 offset:45376                  // 0000000045B4: DBFEB140 9400002B
	v_mfma_f32_16x16x16_bf16 v[64:67], a[172:173], a[36:37], v[64:67]// 0000000045BC: D3E10040 1D0249AC
	s_add_u32 m0, 0x1200, s43                                  // 0000000045C4: 807C2BFF 00001200
	buffer_load_dword v41, s[4:7], 0 offen lds                 // 0000000045CC: E0511000 80010029
	v_mfma_f32_16x16x16_bf16 v[64:67], a[174:175], a[38:39], v[64:67]// 0000000045D4: D3E10040 1D024DAE
	s_add_u32 m0, 0x1300, s43                                  // 0000000045DC: 807C2BFF 00001300
	buffer_load_dword v42, s[4:7], 0 offen lds                 // 0000000045E4: E0511000 8001002A
	ds_read_b128 a[152:155], v43 offset:45824                  // 0000000045EC: DBFEB300 9800002B
	ds_read_b128 a[156:159], v43 offset:45888                  // 0000000045F4: DBFEB340 9C00002B
	v_mfma_f32_16x16x16_bf16 v[68:71], a[168:169], a[40:41], v[68:71]// 0000000045FC: D3E10044 1D1251A8
	s_add_u32 s31, 0x100, s33                                  // 000000004604: 801F21FF 00000100
	s_cmp_lt_u32 s31, s34                                      // 00000000460C: BF0A221F
	s_cselect_b32 s40, s40, 0                                  // 000000004610: 85288028
	buffer_load_dwordx4 a[160:163], v44, s[8:11], 0 offen      // 000000004614: E05C1000 8082A02C
	v_mfma_f32_16x16x16_bf16 v[68:71], a[170:171], a[42:43], v[68:71]// 00000000461C: D3E10044 1D1255AA
	buffer_load_dwordx4 a[164:167], v45, s[8:11], 0 offen      // 000000004624: E05C1000 8082A42D
	s_add_u32 s4, s40, s4                                      // 00000000462C: 80040428
	s_addc_u32 s5, 0, s5                                       // 000000004630: 82050580
	v_mfma_f32_16x16x16_bf16 v[68:71], a[172:173], a[44:45], v[68:71]// 000000004634: D3E10044 1D1259AC
	s_add_u32 s31, 0xc0, s33                                   // 00000000463C: 801F21FF 000000C0
	s_cmp_lt_u32 s31, s34                                      // 000000004644: BF0A221F
	s_cselect_b32 s41, s41, 0                                  // 000000004648: 85298029
	v_mfma_f32_16x16x16_bf16 v[68:71], a[174:175], a[46:47], v[68:71]// 00000000464C: D3E10044 1D125DAE
	s_add_u32 s8, s41, s8                                      // 000000004654: 80080829
	s_addc_u32 s9, 0, s9                                       // 000000004658: 82090980
	v_mfma_f32_16x16x16_bf16 v[72:75], a[168:169], a[48:49], v[72:75]// 00000000465C: D3E10048 1D2261A8
	v_mfma_f32_16x16x16_bf16 v[72:75], a[170:171], a[50:51], v[72:75]// 000000004664: D3E10048 1D2265AA
	v_mfma_f32_16x16x16_bf16 v[72:75], a[172:173], a[52:53], v[72:75]// 00000000466C: D3E10048 1D2269AC
	v_mfma_f32_16x16x16_bf16 v[72:75], a[174:175], a[54:55], v[72:75]// 000000004674: D3E10048 1D226DAE
	v_mfma_f32_16x16x16_bf16 v[76:79], a[168:169], a[56:57], v[76:79]// 00000000467C: D3E1004C 1D3271A8
	v_mfma_f32_16x16x16_bf16 v[76:79], a[170:171], a[58:59], v[76:79]// 000000004684: D3E1004C 1D3275AA
	v_mfma_f32_16x16x16_bf16 v[76:79], a[172:173], a[60:61], v[76:79]// 00000000468C: D3E1004C 1D3279AC
	v_mfma_f32_16x16x16_bf16 v[76:79], a[174:175], a[62:63], v[76:79]// 000000004694: D3E1004C 1D327DAE
	v_mfma_f32_16x16x16_bf16 v[80:83], a[168:169], a[64:65], v[80:83]// 00000000469C: D3E10050 1D4281A8
	v_mfma_f32_16x16x16_bf16 v[80:83], a[170:171], a[66:67], v[80:83]// 0000000046A4: D3E10050 1D4285AA
	v_mfma_f32_16x16x16_bf16 v[80:83], a[172:173], a[68:69], v[80:83]// 0000000046AC: D3E10050 1D4289AC
	v_mfma_f32_16x16x16_bf16 v[80:83], a[174:175], a[70:71], v[80:83]// 0000000046B4: D3E10050 1D428DAE
	v_mfma_f32_16x16x16_bf16 v[84:87], a[168:169], a[72:73], v[84:87]// 0000000046BC: D3E10054 1D5291A8
	v_mfma_f32_16x16x16_bf16 v[84:87], a[170:171], a[74:75], v[84:87]// 0000000046C4: D3E10054 1D5295AA
	v_mfma_f32_16x16x16_bf16 v[84:87], a[172:173], a[76:77], v[84:87]// 0000000046CC: D3E10054 1D5299AC
	v_mfma_f32_16x16x16_bf16 v[84:87], a[174:175], a[78:79], v[84:87]// 0000000046D4: D3E10054 1D529DAE
	s_addk_i32 s33, 0x40                                       // 0000000046DC: B7210040
	s_cmp_lt_i32 s33, s34                                      // 0000000046E0: BF042221
	s_cbranch_scc0 label_0D80                                  // 0000000046E4: BF840606
	s_waitcnt vmcnt(22) lgkmcnt(0)                             // 0000000046E8: BF8C4076
	s_barrier                                                  // 0000000046EC: BF8A0000
	v_mfma_f32_16x16x16_bf16 v[48:51], a[176:177], a[80:81], v[48:51]// 0000000046F0: D3E10030 1CC2A1B0
	s_add_u32 m0, 0, s44                                       // 0000000046F8: 807C2C80
	buffer_load_dword v23, s[4:7], 0 offen lds                 // 0000000046FC: E0511000 80010017
	v_mfma_f32_16x16x16_bf16 v[48:51], a[178:179], a[82:83], v[48:51]// 000000004704: D3E10030 1CC2A5B2
	s_add_u32 m0, 0x100, s44                                   // 00000000470C: 807C2CFF 00000100
	buffer_load_dword v24, s[4:7], 0 offen lds                 // 000000004714: E0511000 80010018
	ds_read_b128 a[0:3], v43                                   // 00000000471C: DBFE0000 0000002B
	ds_read_b128 a[4:7], v43 offset:64                         // 000000004724: DBFE0040 0400002B
	v_mfma_f32_16x16x16_bf16 v[48:51], a[180:181], a[84:85], v[48:51]// 00000000472C: D3E10030 1CC2A9B4
	s_add_u32 m0, 0x200, s44                                   // 000000004734: 807C2CFF 00000200
	buffer_load_dword v25, s[4:7], 0 offen lds                 // 00000000473C: E0511000 80010019
	v_mfma_f32_16x16x16_bf16 v[48:51], a[182:183], a[86:87], v[48:51]// 000000004744: D3E10030 1CC2ADB6
	s_add_u32 m0, 0x300, s44                                   // 00000000474C: 807C2CFF 00000300
	buffer_load_dword v26, s[4:7], 0 offen lds                 // 000000004754: E0511000 8001001A
	ds_read_b128 a[8:11], v43 offset:512                       // 00000000475C: DBFE0200 0800002B
	ds_read_b128 a[12:15], v43 offset:576                      // 000000004764: DBFE0240 0C00002B
	v_mfma_f32_16x16x16_bf16 v[52:55], a[176:177], a[88:89], v[52:55]// 00000000476C: D3E10034 1CD2B1B0
	s_add_u32 m0, 0x400, s44                                   // 000000004774: 807C2CFF 00000400
	buffer_load_dword v27, s[4:7], 0 offen lds                 // 00000000477C: E0511000 8001001B
	v_mfma_f32_16x16x16_bf16 v[52:55], a[178:179], a[90:91], v[52:55]// 000000004784: D3E10034 1CD2B5B2
	s_add_u32 m0, 0x500, s44                                   // 00000000478C: 807C2CFF 00000500
	buffer_load_dword v28, s[4:7], 0 offen lds                 // 000000004794: E0511000 8001001C
	ds_read_b128 a[16:19], v43 offset:1024                     // 00000000479C: DBFE0400 1000002B
	ds_read_b128 a[20:23], v43 offset:1088                     // 0000000047A4: DBFE0440 1400002B
	v_mfma_f32_16x16x16_bf16 v[52:55], a[180:181], a[92:93], v[52:55]// 0000000047AC: D3E10034 1CD2B9B4
	s_add_u32 m0, 0x600, s44                                   // 0000000047B4: 807C2CFF 00000600
	buffer_load_dword v29, s[4:7], 0 offen lds                 // 0000000047BC: E0511000 8001001D
	v_mfma_f32_16x16x16_bf16 v[52:55], a[182:183], a[94:95], v[52:55]// 0000000047C4: D3E10034 1CD2BDB6
	s_add_u32 m0, 0x700, s44                                   // 0000000047CC: 807C2CFF 00000700
	buffer_load_dword v30, s[4:7], 0 offen lds                 // 0000000047D4: E0511000 8001001E
	ds_read_b128 a[24:27], v43 offset:1536                     // 0000000047DC: DBFE0600 1800002B
	ds_read_b128 a[28:31], v43 offset:1600                     // 0000000047E4: DBFE0640 1C00002B
	v_mfma_f32_16x16x16_bf16 v[56:59], a[176:177], a[96:97], v[56:59]// 0000000047EC: D3E10038 1CE2C1B0
	s_add_u32 m0, 0x800, s44                                   // 0000000047F4: 807C2CFF 00000800
	buffer_load_dword v31, s[4:7], 0 offen lds                 // 0000000047FC: E0511000 8001001F
	v_mfma_f32_16x16x16_bf16 v[56:59], a[178:179], a[98:99], v[56:59]// 000000004804: D3E10038 1CE2C5B2
	s_add_u32 m0, 0x900, s44                                   // 00000000480C: 807C2CFF 00000900
	buffer_load_dword v32, s[4:7], 0 offen lds                 // 000000004814: E0511000 80010020
	ds_read_b128 a[32:35], v43 offset:2048                     // 00000000481C: DBFE0800 2000002B
	ds_read_b128 a[36:39], v43 offset:2112                     // 000000004824: DBFE0840 2400002B
	v_mfma_f32_16x16x16_bf16 v[56:59], a[180:181], a[100:101], v[56:59]// 00000000482C: D3E10038 1CE2C9B4
	s_add_u32 m0, 0xa00, s44                                   // 000000004834: 807C2CFF 00000A00
	buffer_load_dword v33, s[4:7], 0 offen lds                 // 00000000483C: E0511000 80010021
	v_mfma_f32_16x16x16_bf16 v[56:59], a[182:183], a[102:103], v[56:59]// 000000004844: D3E10038 1CE2CDB6
	s_add_u32 m0, 0xb00, s44                                   // 00000000484C: 807C2CFF 00000B00
	buffer_load_dword v34, s[4:7], 0 offen lds                 // 000000004854: E0511000 80010022
	ds_read_b128 a[40:43], v43 offset:2560                     // 00000000485C: DBFE0A00 2800002B
	ds_read_b128 a[44:47], v43 offset:2624                     // 000000004864: DBFE0A40 2C00002B
	v_mfma_f32_16x16x16_bf16 v[60:63], a[176:177], a[104:105], v[60:63]// 00000000486C: D3E1003C 1CF2D1B0
	s_add_u32 m0, 0xc00, s44                                   // 000000004874: 807C2CFF 00000C00
	buffer_load_dword v35, s[4:7], 0 offen lds                 // 00000000487C: E0511000 80010023
	v_mfma_f32_16x16x16_bf16 v[60:63], a[178:179], a[106:107], v[60:63]// 000000004884: D3E1003C 1CF2D5B2
	s_add_u32 m0, 0xd00, s44                                   // 00000000488C: 807C2CFF 00000D00
	buffer_load_dword v36, s[4:7], 0 offen lds                 // 000000004894: E0511000 80010024
	ds_read_b128 a[48:51], v43 offset:3072                     // 00000000489C: DBFE0C00 3000002B
	ds_read_b128 a[52:55], v43 offset:3136                     // 0000000048A4: DBFE0C40 3400002B
	v_mfma_f32_16x16x16_bf16 v[60:63], a[180:181], a[108:109], v[60:63]// 0000000048AC: D3E1003C 1CF2D9B4
	s_add_u32 m0, 0xe00, s44                                   // 0000000048B4: 807C2CFF 00000E00
	buffer_load_dword v37, s[4:7], 0 offen lds                 // 0000000048BC: E0511000 80010025
	v_mfma_f32_16x16x16_bf16 v[60:63], a[182:183], a[110:111], v[60:63]// 0000000048C4: D3E1003C 1CF2DDB6
	s_add_u32 m0, 0xf00, s44                                   // 0000000048CC: 807C2CFF 00000F00
	buffer_load_dword v38, s[4:7], 0 offen lds                 // 0000000048D4: E0511000 80010026
	ds_read_b128 a[56:59], v43 offset:3584                     // 0000000048DC: DBFE0E00 3800002B
	ds_read_b128 a[60:63], v43 offset:3648                     // 0000000048E4: DBFE0E40 3C00002B
	v_mfma_f32_16x16x16_bf16 v[64:67], a[176:177], a[112:113], v[64:67]// 0000000048EC: D3E10040 1D02E1B0
	s_add_u32 m0, 0x1000, s44                                  // 0000000048F4: 807C2CFF 00001000
	buffer_load_dword v39, s[4:7], 0 offen lds                 // 0000000048FC: E0511000 80010027
	v_mfma_f32_16x16x16_bf16 v[64:67], a[178:179], a[114:115], v[64:67]// 000000004904: D3E10040 1D02E5B2
	s_add_u32 m0, 0x1100, s44                                  // 00000000490C: 807C2CFF 00001100
	buffer_load_dword v40, s[4:7], 0 offen lds                 // 000000004914: E0511000 80010028
	ds_read_b128 a[64:67], v43 offset:4096                     // 00000000491C: DBFE1000 4000002B
	ds_read_b128 a[68:71], v43 offset:4160                     // 000000004924: DBFE1040 4400002B
	v_mfma_f32_16x16x16_bf16 v[64:67], a[180:181], a[116:117], v[64:67]// 00000000492C: D3E10040 1D02E9B4
	s_add_u32 m0, 0x1200, s44                                  // 000000004934: 807C2CFF 00001200
	buffer_load_dword v41, s[4:7], 0 offen lds                 // 00000000493C: E0511000 80010029
	v_mfma_f32_16x16x16_bf16 v[64:67], a[182:183], a[118:119], v[64:67]// 000000004944: D3E10040 1D02EDB6
	s_add_u32 m0, 0x1300, s44                                  // 00000000494C: 807C2CFF 00001300
	buffer_load_dword v42, s[4:7], 0 offen lds                 // 000000004954: E0511000 8001002A
	ds_read_b128 a[72:75], v43 offset:4608                     // 00000000495C: DBFE1200 4800002B
	ds_read_b128 a[76:79], v43 offset:4672                     // 000000004964: DBFE1240 4C00002B
	v_mfma_f32_16x16x16_bf16 v[68:71], a[176:177], a[120:121], v[68:71]// 00000000496C: D3E10044 1D12F1B0
	s_add_u32 s31, 0x100, s33                                  // 000000004974: 801F21FF 00000100
	s_cmp_lt_u32 s31, s34                                      // 00000000497C: BF0A221F
	s_cselect_b32 s40, s40, 0                                  // 000000004980: 85288028
	buffer_load_dwordx4 a[168:171], v44, s[8:11], 0 offen      // 000000004984: E05C1000 8082A82C
	v_mfma_f32_16x16x16_bf16 v[68:71], a[178:179], a[122:123], v[68:71]// 00000000498C: D3E10044 1D12F5B2
	buffer_load_dwordx4 a[172:175], v45, s[8:11], 0 offen      // 000000004994: E05C1000 8082AC2D
	s_add_u32 s4, s40, s4                                      // 00000000499C: 80040428
	s_addc_u32 s5, 0, s5                                       // 0000000049A0: 82050580
	v_mfma_f32_16x16x16_bf16 v[68:71], a[180:181], a[124:125], v[68:71]// 0000000049A4: D3E10044 1D12F9B4
	s_add_u32 s31, 0xc0, s33                                   // 0000000049AC: 801F21FF 000000C0
	s_cmp_lt_u32 s31, s34                                      // 0000000049B4: BF0A221F
	s_cselect_b32 s41, s41, 0                                  // 0000000049B8: 85298029
	v_mfma_f32_16x16x16_bf16 v[68:71], a[182:183], a[126:127], v[68:71]// 0000000049BC: D3E10044 1D12FDB6
	s_add_u32 s8, s41, s8                                      // 0000000049C4: 80080829
	s_addc_u32 s9, 0, s9                                       // 0000000049C8: 82090980
	v_mfma_f32_16x16x16_bf16 v[72:75], a[176:177], a[128:129], v[72:75]// 0000000049CC: D3E10048 1D2301B0
	v_mfma_f32_16x16x16_bf16 v[72:75], a[178:179], a[130:131], v[72:75]// 0000000049D4: D3E10048 1D2305B2
	v_mfma_f32_16x16x16_bf16 v[72:75], a[180:181], a[132:133], v[72:75]// 0000000049DC: D3E10048 1D2309B4
	v_mfma_f32_16x16x16_bf16 v[72:75], a[182:183], a[134:135], v[72:75]// 0000000049E4: D3E10048 1D230DB6
	v_mfma_f32_16x16x16_bf16 v[76:79], a[176:177], a[136:137], v[76:79]// 0000000049EC: D3E1004C 1D3311B0
	v_mfma_f32_16x16x16_bf16 v[76:79], a[178:179], a[138:139], v[76:79]// 0000000049F4: D3E1004C 1D3315B2
	v_mfma_f32_16x16x16_bf16 v[76:79], a[180:181], a[140:141], v[76:79]// 0000000049FC: D3E1004C 1D3319B4
	v_mfma_f32_16x16x16_bf16 v[76:79], a[182:183], a[142:143], v[76:79]// 000000004A04: D3E1004C 1D331DB6
	v_mfma_f32_16x16x16_bf16 v[80:83], a[176:177], a[144:145], v[80:83]// 000000004A0C: D3E10050 1D4321B0
	v_mfma_f32_16x16x16_bf16 v[80:83], a[178:179], a[146:147], v[80:83]// 000000004A14: D3E10050 1D4325B2
	v_mfma_f32_16x16x16_bf16 v[80:83], a[180:181], a[148:149], v[80:83]// 000000004A1C: D3E10050 1D4329B4
	v_mfma_f32_16x16x16_bf16 v[80:83], a[182:183], a[150:151], v[80:83]// 000000004A24: D3E10050 1D432DB6
	v_mfma_f32_16x16x16_bf16 v[84:87], a[176:177], a[152:153], v[84:87]// 000000004A2C: D3E10054 1D5331B0
	v_mfma_f32_16x16x16_bf16 v[84:87], a[178:179], a[154:155], v[84:87]// 000000004A34: D3E10054 1D5335B2
	v_mfma_f32_16x16x16_bf16 v[84:87], a[180:181], a[156:157], v[84:87]// 000000004A3C: D3E10054 1D5339B4
	v_mfma_f32_16x16x16_bf16 v[84:87], a[182:183], a[158:159], v[84:87]// 000000004A44: D3E10054 1D533DB6
	s_addk_i32 s33, 0x40                                       // 000000004A4C: B7210040
	s_cmp_lt_i32 s33, s34                                      // 000000004A50: BF042221
	s_cbranch_scc0 label_0D80                                  // 000000004A54: BF84052A
	s_branch label_032E                                        // 000000004A58: BF82FAD7

0000000000004a5c <label_0857>:
	s_waitcnt vmcnt(22) lgkmcnt(0)                             // 000000004A5C: BF8C4076
	s_barrier                                                  // 000000004A60: BF8A0000
	v_mfma_f32_16x16x16_bf16 v[48:51], a[160:161], a[0:1], v[48:51]// 000000004A64: D3E10030 1CC201A0
	s_add_u32 m0, 0, s42                                       // 000000004A6C: 807C2A80
	buffer_load_dword v23, s[4:7], 0 offen lds                 // 000000004A70: E0511000 80010017
	ds_read_b128 a[80:83], v43 offset:20608                    // 000000004A78: DBFE5080 5000002B
	ds_read_b128 a[84:87], v43 offset:20672                    // 000000004A80: DBFE50C0 5400002B
	v_mfma_f32_16x16x16_bf16 v[48:51], a[162:163], a[2:3], v[48:51]// 000000004A88: D3E10030 1CC205A2
	s_add_u32 m0, 0x100, s42                                   // 000000004A90: 807C2AFF 00000100
	buffer_load_dword v24, s[4:7], 0 offen lds                 // 000000004A98: E0511000 80010018
	v_mfma_f32_16x16x16_bf16 v[48:51], a[164:165], a[4:5], v[48:51]// 000000004AA0: D3E10030 1CC209A4
	s_add_u32 m0, 0x200, s42                                   // 000000004AA8: 807C2AFF 00000200
	buffer_load_dword v25, s[4:7], 0 offen lds                 // 000000004AB0: E0511000 80010019
	ds_read_b128 a[88:91], v43 offset:21120                    // 000000004AB8: DBFE5280 5800002B
	ds_read_b128 a[92:95], v43 offset:21184                    // 000000004AC0: DBFE52C0 5C00002B
	v_mfma_f32_16x16x16_bf16 v[48:51], a[166:167], a[6:7], v[48:51]// 000000004AC8: D3E10030 1CC20DA6
	s_add_u32 m0, 0x300, s42                                   // 000000004AD0: 807C2AFF 00000300
	buffer_load_dword v26, s[4:7], 0 offen lds                 // 000000004AD8: E0511000 8001001A
	v_mfma_f32_16x16x16_bf16 v[52:55], a[160:161], a[8:9], v[52:55]// 000000004AE0: D3E10034 1CD211A0
	s_add_u32 m0, 0x400, s42                                   // 000000004AE8: 807C2AFF 00000400
	buffer_load_dword v27, s[4:7], 0 offen lds                 // 000000004AF0: E0511000 8001001B
	ds_read_b128 a[96:99], v43 offset:21632                    // 000000004AF8: DBFE5480 6000002B
	ds_read_b128 a[100:103], v43 offset:21696                  // 000000004B00: DBFE54C0 6400002B
	v_mfma_f32_16x16x16_bf16 v[52:55], a[162:163], a[10:11], v[52:55]// 000000004B08: D3E10034 1CD215A2
	s_add_u32 m0, 0x500, s42                                   // 000000004B10: 807C2AFF 00000500
	buffer_load_dword v28, s[4:7], 0 offen lds                 // 000000004B18: E0511000 8001001C
	v_mfma_f32_16x16x16_bf16 v[52:55], a[164:165], a[12:13], v[52:55]// 000000004B20: D3E10034 1CD219A4
	s_add_u32 m0, 0x600, s42                                   // 000000004B28: 807C2AFF 00000600
	buffer_load_dword v29, s[4:7], 0 offen lds                 // 000000004B30: E0511000 8001001D
	ds_read_b128 a[104:107], v43 offset:22144                  // 000000004B38: DBFE5680 6800002B
	ds_read_b128 a[108:111], v43 offset:22208                  // 000000004B40: DBFE56C0 6C00002B
	v_mfma_f32_16x16x16_bf16 v[52:55], a[166:167], a[14:15], v[52:55]// 000000004B48: D3E10034 1CD21DA6
	s_add_u32 m0, 0x700, s42                                   // 000000004B50: 807C2AFF 00000700
	buffer_load_dword v30, s[4:7], 0 offen lds                 // 000000004B58: E0511000 8001001E
	v_mfma_f32_16x16x16_bf16 v[56:59], a[160:161], a[16:17], v[56:59]// 000000004B60: D3E10038 1CE221A0
	s_add_u32 m0, 0x800, s42                                   // 000000004B68: 807C2AFF 00000800
	buffer_load_dword v31, s[4:7], 0 offen lds                 // 000000004B70: E0511000 8001001F
	ds_read_b128 a[112:115], v43 offset:22656                  // 000000004B78: DBFE5880 7000002B
	ds_read_b128 a[116:119], v43 offset:22720                  // 000000004B80: DBFE58C0 7400002B
	v_mfma_f32_16x16x16_bf16 v[56:59], a[162:163], a[18:19], v[56:59]// 000000004B88: D3E10038 1CE225A2
	s_add_u32 m0, 0x900, s42                                   // 000000004B90: 807C2AFF 00000900
	buffer_load_dword v32, s[4:7], 0 offen lds                 // 000000004B98: E0511000 80010020
	v_mfma_f32_16x16x16_bf16 v[56:59], a[164:165], a[20:21], v[56:59]// 000000004BA0: D3E10038 1CE229A4
	s_add_u32 m0, 0xa00, s42                                   // 000000004BA8: 807C2AFF 00000A00
	buffer_load_dword v33, s[4:7], 0 offen lds                 // 000000004BB0: E0511000 80010021
	ds_read_b128 a[120:123], v43 offset:23168                  // 000000004BB8: DBFE5A80 7800002B
	ds_read_b128 a[124:127], v43 offset:23232                  // 000000004BC0: DBFE5AC0 7C00002B
	v_mfma_f32_16x16x16_bf16 v[56:59], a[166:167], a[22:23], v[56:59]// 000000004BC8: D3E10038 1CE22DA6
	s_add_u32 m0, 0xb00, s42                                   // 000000004BD0: 807C2AFF 00000B00
	buffer_load_dword v34, s[4:7], 0 offen lds                 // 000000004BD8: E0511000 80010022
	v_mfma_f32_16x16x16_bf16 v[60:63], a[160:161], a[24:25], v[60:63]// 000000004BE0: D3E1003C 1CF231A0
	s_add_u32 m0, 0xc00, s42                                   // 000000004BE8: 807C2AFF 00000C00
	buffer_load_dword v35, s[4:7], 0 offen lds                 // 000000004BF0: E0511000 80010023
	ds_read_b128 a[128:131], v43 offset:23680                  // 000000004BF8: DBFE5C80 8000002B
	ds_read_b128 a[132:135], v43 offset:23744                  // 000000004C00: DBFE5CC0 8400002B
	v_mfma_f32_16x16x16_bf16 v[60:63], a[162:163], a[26:27], v[60:63]// 000000004C08: D3E1003C 1CF235A2
	s_add_u32 m0, 0xd00, s42                                   // 000000004C10: 807C2AFF 00000D00
	buffer_load_dword v36, s[4:7], 0 offen lds                 // 000000004C18: E0511000 80010024
	v_mfma_f32_16x16x16_bf16 v[60:63], a[164:165], a[28:29], v[60:63]// 000000004C20: D3E1003C 1CF239A4
	s_add_u32 m0, 0xe00, s42                                   // 000000004C28: 807C2AFF 00000E00
	buffer_load_dword v37, s[4:7], 0 offen lds                 // 000000004C30: E0511000 80010025
	ds_read_b128 a[136:139], v43 offset:24192                  // 000000004C38: DBFE5E80 8800002B
	ds_read_b128 a[140:143], v43 offset:24256                  // 000000004C40: DBFE5EC0 8C00002B
	v_mfma_f32_16x16x16_bf16 v[60:63], a[166:167], a[30:31], v[60:63]// 000000004C48: D3E1003C 1CF23DA6
	s_add_u32 m0, 0xf00, s42                                   // 000000004C50: 807C2AFF 00000F00
	buffer_load_dword v38, s[4:7], 0 offen lds                 // 000000004C58: E0511000 80010026
	v_mfma_f32_16x16x16_bf16 v[64:67], a[160:161], a[32:33], v[64:67]// 000000004C60: D3E10040 1D0241A0
	s_add_u32 m0, 0x1000, s42                                  // 000000004C68: 807C2AFF 00001000
	buffer_load_dword v39, s[4:7], 0 offen lds                 // 000000004C70: E0511000 80010027
	ds_read_b128 a[144:147], v43 offset:24704                  // 000000004C78: DBFE6080 9000002B
	ds_read_b128 a[148:151], v43 offset:24768                  // 000000004C80: DBFE60C0 9400002B
	v_mfma_f32_16x16x16_bf16 v[64:67], a[162:163], a[34:35], v[64:67]// 000000004C88: D3E10040 1D0245A2
	s_add_u32 m0, 0x1100, s42                                  // 000000004C90: 807C2AFF 00001100
	buffer_load_dword v40, s[4:7], 0 offen lds                 // 000000004C98: E0511000 80010028
	v_mfma_f32_16x16x16_bf16 v[64:67], a[164:165], a[36:37], v[64:67]// 000000004CA0: D3E10040 1D0249A4
	s_add_u32 m0, 0x1200, s42                                  // 000000004CA8: 807C2AFF 00001200
	buffer_load_dword v41, s[4:7], 0 offen lds                 // 000000004CB0: E0511000 80010029
	ds_read_b128 a[152:155], v43 offset:25216                  // 000000004CB8: DBFE6280 9800002B
	ds_read_b128 a[156:159], v43 offset:25280                  // 000000004CC0: DBFE62C0 9C00002B
	v_mfma_f32_16x16x16_bf16 v[64:67], a[166:167], a[38:39], v[64:67]// 000000004CC8: D3E10040 1D024DA6
	s_add_u32 m0, 0x1300, s42                                  // 000000004CD0: 807C2AFF 00001300
	buffer_load_dword v42, s[4:7], 0 offen lds                 // 000000004CD8: E0511000 8001002A
	v_mfma_f32_16x16x16_bf16 v[68:71], a[160:161], a[40:41], v[68:71]// 000000004CE0: D3E10044 1D1251A0
	s_add_u32 s31, 0x100, s33                                  // 000000004CE8: 801F21FF 00000100
	s_cmp_lt_u32 s31, s34                                      // 000000004CF0: BF0A221F
	s_cselect_b32 s40, s40, 0                                  // 000000004CF4: 85288028
	buffer_load_dwordx4 a[176:179], v44, s[8:11], 0 offen      // 000000004CF8: E05C1000 8082B02C
	s_add_u32 s4, s40, s4                                      // 000000004D00: 80040428
	s_addc_u32 s5, 0, s5                                       // 000000004D04: 82050580
	v_mfma_f32_16x16x16_bf16 v[68:71], a[162:163], a[42:43], v[68:71]// 000000004D08: D3E10044 1D1255A2
	buffer_load_dwordx4 a[180:183], v45, s[8:11], 0 offen      // 000000004D10: E05C1000 8082B42D
	v_mfma_f32_16x16x16_bf16 v[68:71], a[164:165], a[44:45], v[68:71]// 000000004D18: D3E10044 1D1259A4
	s_add_u32 s31, 0xc0, s33                                   // 000000004D20: 801F21FF 000000C0
	s_cmp_lt_u32 s31, s34                                      // 000000004D28: BF0A221F
	s_cselect_b32 s41, s41, 0                                  // 000000004D2C: 85298029
	s_add_u32 s8, s41, s8                                      // 000000004D30: 80080829
	s_addc_u32 s9, 0, s9                                       // 000000004D34: 82090980
	v_mfma_f32_16x16x16_bf16 v[68:71], a[166:167], a[46:47], v[68:71]// 000000004D38: D3E10044 1D125DA6
	v_mfma_f32_16x16x16_bf16 v[72:75], a[160:161], a[48:49], v[72:75]// 000000004D40: D3E10048 1D2261A0
	v_mfma_f32_16x16x16_bf16 v[72:75], a[162:163], a[50:51], v[72:75]// 000000004D48: D3E10048 1D2265A2
	v_mfma_f32_16x16x16_bf16 v[72:75], a[164:165], a[52:53], v[72:75]// 000000004D50: D3E10048 1D2269A4
	v_mfma_f32_16x16x16_bf16 v[72:75], a[166:167], a[54:55], v[72:75]// 000000004D58: D3E10048 1D226DA6
	v_mfma_f32_16x16x16_bf16 v[76:79], a[160:161], a[56:57], v[76:79]// 000000004D60: D3E1004C 1D3271A0
	v_mfma_f32_16x16x16_bf16 v[76:79], a[162:163], a[58:59], v[76:79]// 000000004D68: D3E1004C 1D3275A2
	v_mfma_f32_16x16x16_bf16 v[76:79], a[164:165], a[60:61], v[76:79]// 000000004D70: D3E1004C 1D3279A4
	v_mfma_f32_16x16x16_bf16 v[76:79], a[166:167], a[62:63], v[76:79]// 000000004D78: D3E1004C 1D327DA6
	v_mfma_f32_16x16x16_bf16 v[80:83], a[160:161], a[64:65], v[80:83]// 000000004D80: D3E10050 1D4281A0
	v_mfma_f32_16x16x16_bf16 v[80:83], a[162:163], a[66:67], v[80:83]// 000000004D88: D3E10050 1D4285A2
	v_mfma_f32_16x16x16_bf16 v[80:83], a[164:165], a[68:69], v[80:83]// 000000004D90: D3E10050 1D4289A4
	v_mfma_f32_16x16x16_bf16 v[80:83], a[166:167], a[70:71], v[80:83]// 000000004D98: D3E10050 1D428DA6
	v_mfma_f32_16x16x16_bf16 v[84:87], a[160:161], a[72:73], v[84:87]// 000000004DA0: D3E10054 1D5291A0
	v_mfma_f32_16x16x16_bf16 v[84:87], a[162:163], a[74:75], v[84:87]// 000000004DA8: D3E10054 1D5295A2
	v_mfma_f32_16x16x16_bf16 v[84:87], a[164:165], a[76:77], v[84:87]// 000000004DB0: D3E10054 1D5299A4
	v_mfma_f32_16x16x16_bf16 v[84:87], a[166:167], a[78:79], v[84:87]// 000000004DB8: D3E10054 1D529DA6
	s_addk_i32 s33, 0x40                                       // 000000004DC0: B7210040
	s_cmp_lt_i32 s33, s34                                      // 000000004DC4: BF042221
	s_cbranch_scc0 label_0D80                                  // 000000004DC8: BF84044D
	s_waitcnt vmcnt(22) lgkmcnt(0)                             // 000000004DCC: BF8C4076
	s_barrier                                                  // 000000004DD0: BF8A0000
	v_mfma_f32_16x16x16_bf16 v[48:51], a[168:169], a[80:81], v[48:51]// 000000004DD4: D3E10030 1CC2A1A8
	s_add_u32 m0, 0, s43                                       // 000000004DDC: 807C2B80
	buffer_load_dword v23, s[4:7], 0 offen lds                 // 000000004DE0: E0511000 80010017
	ds_read_b128 a[0:3], v43 offset:41216                      // 000000004DE8: DBFEA100 0000002B
	ds_read_b128 a[4:7], v43 offset:41280                      // 000000004DF0: DBFEA140 0400002B
	v_mfma_f32_16x16x16_bf16 v[48:51], a[170:171], a[82:83], v[48:51]// 000000004DF8: D3E10030 1CC2A5AA
	s_add_u32 m0, 0x100, s43                                   // 000000004E00: 807C2BFF 00000100
	buffer_load_dword v24, s[4:7], 0 offen lds                 // 000000004E08: E0511000 80010018
	v_mfma_f32_16x16x16_bf16 v[48:51], a[172:173], a[84:85], v[48:51]// 000000004E10: D3E10030 1CC2A9AC
	s_add_u32 m0, 0x200, s43                                   // 000000004E18: 807C2BFF 00000200
	buffer_load_dword v25, s[4:7], 0 offen lds                 // 000000004E20: E0511000 80010019
	ds_read_b128 a[8:11], v43 offset:41728                     // 000000004E28: DBFEA300 0800002B
	ds_read_b128 a[12:15], v43 offset:41792                    // 000000004E30: DBFEA340 0C00002B
	v_mfma_f32_16x16x16_bf16 v[48:51], a[174:175], a[86:87], v[48:51]// 000000004E38: D3E10030 1CC2ADAE
	s_add_u32 m0, 0x300, s43                                   // 000000004E40: 807C2BFF 00000300
	buffer_load_dword v26, s[4:7], 0 offen lds                 // 000000004E48: E0511000 8001001A
	v_mfma_f32_16x16x16_bf16 v[52:55], a[168:169], a[88:89], v[52:55]// 000000004E50: D3E10034 1CD2B1A8
	s_add_u32 m0, 0x400, s43                                   // 000000004E58: 807C2BFF 00000400
	buffer_load_dword v27, s[4:7], 0 offen lds                 // 000000004E60: E0511000 8001001B
	ds_read_b128 a[16:19], v43 offset:42240                    // 000000004E68: DBFEA500 1000002B
	ds_read_b128 a[20:23], v43 offset:42304                    // 000000004E70: DBFEA540 1400002B
	v_mfma_f32_16x16x16_bf16 v[52:55], a[170:171], a[90:91], v[52:55]// 000000004E78: D3E10034 1CD2B5AA
	s_add_u32 m0, 0x500, s43                                   // 000000004E80: 807C2BFF 00000500
	buffer_load_dword v28, s[4:7], 0 offen lds                 // 000000004E88: E0511000 8001001C
	v_mfma_f32_16x16x16_bf16 v[52:55], a[172:173], a[92:93], v[52:55]// 000000004E90: D3E10034 1CD2B9AC
	s_add_u32 m0, 0x600, s43                                   // 000000004E98: 807C2BFF 00000600
	buffer_load_dword v29, s[4:7], 0 offen lds                 // 000000004EA0: E0511000 8001001D
	ds_read_b128 a[24:27], v43 offset:42752                    // 000000004EA8: DBFEA700 1800002B
	ds_read_b128 a[28:31], v43 offset:42816                    // 000000004EB0: DBFEA740 1C00002B
	v_mfma_f32_16x16x16_bf16 v[52:55], a[174:175], a[94:95], v[52:55]// 000000004EB8: D3E10034 1CD2BDAE
	s_add_u32 m0, 0x700, s43                                   // 000000004EC0: 807C2BFF 00000700
	buffer_load_dword v30, s[4:7], 0 offen lds                 // 000000004EC8: E0511000 8001001E
	v_mfma_f32_16x16x16_bf16 v[56:59], a[168:169], a[96:97], v[56:59]// 000000004ED0: D3E10038 1CE2C1A8
	s_add_u32 m0, 0x800, s43                                   // 000000004ED8: 807C2BFF 00000800
	buffer_load_dword v31, s[4:7], 0 offen lds                 // 000000004EE0: E0511000 8001001F
	ds_read_b128 a[32:35], v43 offset:43264                    // 000000004EE8: DBFEA900 2000002B
	ds_read_b128 a[36:39], v43 offset:43328                    // 000000004EF0: DBFEA940 2400002B
	v_mfma_f32_16x16x16_bf16 v[56:59], a[170:171], a[98:99], v[56:59]// 000000004EF8: D3E10038 1CE2C5AA
	s_add_u32 m0, 0x900, s43                                   // 000000004F00: 807C2BFF 00000900
	buffer_load_dword v32, s[4:7], 0 offen lds                 // 000000004F08: E0511000 80010020
	v_mfma_f32_16x16x16_bf16 v[56:59], a[172:173], a[100:101], v[56:59]// 000000004F10: D3E10038 1CE2C9AC
	s_add_u32 m0, 0xa00, s43                                   // 000000004F18: 807C2BFF 00000A00
	buffer_load_dword v33, s[4:7], 0 offen lds                 // 000000004F20: E0511000 80010021
	ds_read_b128 a[40:43], v43 offset:43776                    // 000000004F28: DBFEAB00 2800002B
	ds_read_b128 a[44:47], v43 offset:43840                    // 000000004F30: DBFEAB40 2C00002B
	v_mfma_f32_16x16x16_bf16 v[56:59], a[174:175], a[102:103], v[56:59]// 000000004F38: D3E10038 1CE2CDAE
	s_add_u32 m0, 0xb00, s43                                   // 000000004F40: 807C2BFF 00000B00
	buffer_load_dword v34, s[4:7], 0 offen lds                 // 000000004F48: E0511000 80010022
	v_mfma_f32_16x16x16_bf16 v[60:63], a[168:169], a[104:105], v[60:63]// 000000004F50: D3E1003C 1CF2D1A8
	s_add_u32 m0, 0xc00, s43                                   // 000000004F58: 807C2BFF 00000C00
	buffer_load_dword v35, s[4:7], 0 offen lds                 // 000000004F60: E0511000 80010023
	ds_read_b128 a[48:51], v43 offset:44288                    // 000000004F68: DBFEAD00 3000002B
	ds_read_b128 a[52:55], v43 offset:44352                    // 000000004F70: DBFEAD40 3400002B
	v_mfma_f32_16x16x16_bf16 v[60:63], a[170:171], a[106:107], v[60:63]// 000000004F78: D3E1003C 1CF2D5AA
	s_add_u32 m0, 0xd00, s43                                   // 000000004F80: 807C2BFF 00000D00
	buffer_load_dword v36, s[4:7], 0 offen lds                 // 000000004F88: E0511000 80010024
	v_mfma_f32_16x16x16_bf16 v[60:63], a[172:173], a[108:109], v[60:63]// 000000004F90: D3E1003C 1CF2D9AC
	s_add_u32 m0, 0xe00, s43                                   // 000000004F98: 807C2BFF 00000E00
	buffer_load_dword v37, s[4:7], 0 offen lds                 // 000000004FA0: E0511000 80010025
	ds_read_b128 a[56:59], v43 offset:44800                    // 000000004FA8: DBFEAF00 3800002B
	ds_read_b128 a[60:63], v43 offset:44864                    // 000000004FB0: DBFEAF40 3C00002B
	v_mfma_f32_16x16x16_bf16 v[60:63], a[174:175], a[110:111], v[60:63]// 000000004FB8: D3E1003C 1CF2DDAE
	s_add_u32 m0, 0xf00, s43                                   // 000000004FC0: 807C2BFF 00000F00
	buffer_load_dword v38, s[4:7], 0 offen lds                 // 000000004FC8: E0511000 80010026
	v_mfma_f32_16x16x16_bf16 v[64:67], a[168:169], a[112:113], v[64:67]// 000000004FD0: D3E10040 1D02E1A8
	s_add_u32 m0, 0x1000, s43                                  // 000000004FD8: 807C2BFF 00001000
	buffer_load_dword v39, s[4:7], 0 offen lds                 // 000000004FE0: E0511000 80010027
	ds_read_b128 a[64:67], v43 offset:45312                    // 000000004FE8: DBFEB100 4000002B
	ds_read_b128 a[68:71], v43 offset:45376                    // 000000004FF0: DBFEB140 4400002B
	v_mfma_f32_16x16x16_bf16 v[64:67], a[170:171], a[114:115], v[64:67]// 000000004FF8: D3E10040 1D02E5AA
	s_add_u32 m0, 0x1100, s43                                  // 000000005000: 807C2BFF 00001100
	buffer_load_dword v40, s[4:7], 0 offen lds                 // 000000005008: E0511000 80010028
	v_mfma_f32_16x16x16_bf16 v[64:67], a[172:173], a[116:117], v[64:67]// 000000005010: D3E10040 1D02E9AC
	s_add_u32 m0, 0x1200, s43                                  // 000000005018: 807C2BFF 00001200
	buffer_load_dword v41, s[4:7], 0 offen lds                 // 000000005020: E0511000 80010029
	ds_read_b128 a[72:75], v43 offset:45824                    // 000000005028: DBFEB300 4800002B
	ds_read_b128 a[76:79], v43 offset:45888                    // 000000005030: DBFEB340 4C00002B
	v_mfma_f32_16x16x16_bf16 v[64:67], a[174:175], a[118:119], v[64:67]// 000000005038: D3E10040 1D02EDAE
	s_add_u32 m0, 0x1300, s43                                  // 000000005040: 807C2BFF 00001300
	buffer_load_dword v42, s[4:7], 0 offen lds                 // 000000005048: E0511000 8001002A
	v_mfma_f32_16x16x16_bf16 v[68:71], a[168:169], a[120:121], v[68:71]// 000000005050: D3E10044 1D12F1A8
	s_add_u32 s31, 0x100, s33                                  // 000000005058: 801F21FF 00000100
	s_cmp_lt_u32 s31, s34                                      // 000000005060: BF0A221F
	s_cselect_b32 s40, s40, 0                                  // 000000005064: 85288028
	buffer_load_dwordx4 a[160:163], v44, s[8:11], 0 offen      // 000000005068: E05C1000 8082A02C
	s_add_u32 s4, s40, s4                                      // 000000005070: 80040428
	s_addc_u32 s5, 0, s5                                       // 000000005074: 82050580
	v_mfma_f32_16x16x16_bf16 v[68:71], a[170:171], a[122:123], v[68:71]// 000000005078: D3E10044 1D12F5AA
	buffer_load_dwordx4 a[164:167], v45, s[8:11], 0 offen      // 000000005080: E05C1000 8082A42D
	v_mfma_f32_16x16x16_bf16 v[68:71], a[172:173], a[124:125], v[68:71]// 000000005088: D3E10044 1D12F9AC
	s_add_u32 s31, 0xc0, s33                                   // 000000005090: 801F21FF 000000C0
	s_cmp_lt_u32 s31, s34                                      // 000000005098: BF0A221F
	s_cselect_b32 s41, s41, 0                                  // 00000000509C: 85298029
	s_add_u32 s8, s41, s8                                      // 0000000050A0: 80080829
	s_addc_u32 s9, 0, s9                                       // 0000000050A4: 82090980
	v_mfma_f32_16x16x16_bf16 v[68:71], a[174:175], a[126:127], v[68:71]// 0000000050A8: D3E10044 1D12FDAE
	v_mfma_f32_16x16x16_bf16 v[72:75], a[168:169], a[128:129], v[72:75]// 0000000050B0: D3E10048 1D2301A8
	v_mfma_f32_16x16x16_bf16 v[72:75], a[170:171], a[130:131], v[72:75]// 0000000050B8: D3E10048 1D2305AA
	v_mfma_f32_16x16x16_bf16 v[72:75], a[172:173], a[132:133], v[72:75]// 0000000050C0: D3E10048 1D2309AC
	v_mfma_f32_16x16x16_bf16 v[72:75], a[174:175], a[134:135], v[72:75]// 0000000050C8: D3E10048 1D230DAE
	v_mfma_f32_16x16x16_bf16 v[76:79], a[168:169], a[136:137], v[76:79]// 0000000050D0: D3E1004C 1D3311A8
	v_mfma_f32_16x16x16_bf16 v[76:79], a[170:171], a[138:139], v[76:79]// 0000000050D8: D3E1004C 1D3315AA
	v_mfma_f32_16x16x16_bf16 v[76:79], a[172:173], a[140:141], v[76:79]// 0000000050E0: D3E1004C 1D3319AC
	v_mfma_f32_16x16x16_bf16 v[76:79], a[174:175], a[142:143], v[76:79]// 0000000050E8: D3E1004C 1D331DAE
	v_mfma_f32_16x16x16_bf16 v[80:83], a[168:169], a[144:145], v[80:83]// 0000000050F0: D3E10050 1D4321A8
	v_mfma_f32_16x16x16_bf16 v[80:83], a[170:171], a[146:147], v[80:83]// 0000000050F8: D3E10050 1D4325AA
	v_mfma_f32_16x16x16_bf16 v[80:83], a[172:173], a[148:149], v[80:83]// 000000005100: D3E10050 1D4329AC
	v_mfma_f32_16x16x16_bf16 v[80:83], a[174:175], a[150:151], v[80:83]// 000000005108: D3E10050 1D432DAE
	v_mfma_f32_16x16x16_bf16 v[84:87], a[168:169], a[152:153], v[84:87]// 000000005110: D3E10054 1D5331A8
	v_mfma_f32_16x16x16_bf16 v[84:87], a[170:171], a[154:155], v[84:87]// 000000005118: D3E10054 1D5335AA
	v_mfma_f32_16x16x16_bf16 v[84:87], a[172:173], a[156:157], v[84:87]// 000000005120: D3E10054 1D5339AC
	v_mfma_f32_16x16x16_bf16 v[84:87], a[174:175], a[158:159], v[84:87]// 000000005128: D3E10054 1D533DAE
	s_addk_i32 s33, 0x40                                       // 000000005130: B7210040
	s_cmp_lt_i32 s33, s34                                      // 000000005134: BF042221
	s_cbranch_scc0 label_0D80                                  // 000000005138: BF840371
	s_waitcnt vmcnt(22) lgkmcnt(0)                             // 00000000513C: BF8C4076
	s_barrier                                                  // 000000005140: BF8A0000
	v_mfma_f32_16x16x16_bf16 v[48:51], a[176:177], a[0:1], v[48:51]// 000000005144: D3E10030 1CC201B0
	s_add_u32 m0, 0, s44                                       // 00000000514C: 807C2C80
	buffer_load_dword v23, s[4:7], 0 offen lds                 // 000000005150: E0511000 80010017
	ds_read_b128 a[80:83], v43                                 // 000000005158: DBFE0000 5000002B
	ds_read_b128 a[84:87], v43 offset:64                       // 000000005160: DBFE0040 5400002B
	v_mfma_f32_16x16x16_bf16 v[48:51], a[178:179], a[2:3], v[48:51]// 000000005168: D3E10030 1CC205B2
	s_add_u32 m0, 0x100, s44                                   // 000000005170: 807C2CFF 00000100
	buffer_load_dword v24, s[4:7], 0 offen lds                 // 000000005178: E0511000 80010018
	v_mfma_f32_16x16x16_bf16 v[48:51], a[180:181], a[4:5], v[48:51]// 000000005180: D3E10030 1CC209B4
	s_add_u32 m0, 0x200, s44                                   // 000000005188: 807C2CFF 00000200
	buffer_load_dword v25, s[4:7], 0 offen lds                 // 000000005190: E0511000 80010019
	ds_read_b128 a[88:91], v43 offset:512                      // 000000005198: DBFE0200 5800002B
	ds_read_b128 a[92:95], v43 offset:576                      // 0000000051A0: DBFE0240 5C00002B
	v_mfma_f32_16x16x16_bf16 v[48:51], a[182:183], a[6:7], v[48:51]// 0000000051A8: D3E10030 1CC20DB6
	s_add_u32 m0, 0x300, s44                                   // 0000000051B0: 807C2CFF 00000300
	buffer_load_dword v26, s[4:7], 0 offen lds                 // 0000000051B8: E0511000 8001001A
	v_mfma_f32_16x16x16_bf16 v[52:55], a[176:177], a[8:9], v[52:55]// 0000000051C0: D3E10034 1CD211B0
	s_add_u32 m0, 0x400, s44                                   // 0000000051C8: 807C2CFF 00000400
	buffer_load_dword v27, s[4:7], 0 offen lds                 // 0000000051D0: E0511000 8001001B
	ds_read_b128 a[96:99], v43 offset:1024                     // 0000000051D8: DBFE0400 6000002B
	ds_read_b128 a[100:103], v43 offset:1088                   // 0000000051E0: DBFE0440 6400002B
	v_mfma_f32_16x16x16_bf16 v[52:55], a[178:179], a[10:11], v[52:55]// 0000000051E8: D3E10034 1CD215B2
	s_add_u32 m0, 0x500, s44                                   // 0000000051F0: 807C2CFF 00000500
	buffer_load_dword v28, s[4:7], 0 offen lds                 // 0000000051F8: E0511000 8001001C
	v_mfma_f32_16x16x16_bf16 v[52:55], a[180:181], a[12:13], v[52:55]// 000000005200: D3E10034 1CD219B4
	s_add_u32 m0, 0x600, s44                                   // 000000005208: 807C2CFF 00000600
	buffer_load_dword v29, s[4:7], 0 offen lds                 // 000000005210: E0511000 8001001D
	ds_read_b128 a[104:107], v43 offset:1536                   // 000000005218: DBFE0600 6800002B
	ds_read_b128 a[108:111], v43 offset:1600                   // 000000005220: DBFE0640 6C00002B
	v_mfma_f32_16x16x16_bf16 v[52:55], a[182:183], a[14:15], v[52:55]// 000000005228: D3E10034 1CD21DB6
	s_add_u32 m0, 0x700, s44                                   // 000000005230: 807C2CFF 00000700
	buffer_load_dword v30, s[4:7], 0 offen lds                 // 000000005238: E0511000 8001001E
	v_mfma_f32_16x16x16_bf16 v[56:59], a[176:177], a[16:17], v[56:59]// 000000005240: D3E10038 1CE221B0
	s_add_u32 m0, 0x800, s44                                   // 000000005248: 807C2CFF 00000800
	buffer_load_dword v31, s[4:7], 0 offen lds                 // 000000005250: E0511000 8001001F
	ds_read_b128 a[112:115], v43 offset:2048                   // 000000005258: DBFE0800 7000002B
	ds_read_b128 a[116:119], v43 offset:2112                   // 000000005260: DBFE0840 7400002B
	v_mfma_f32_16x16x16_bf16 v[56:59], a[178:179], a[18:19], v[56:59]// 000000005268: D3E10038 1CE225B2
	s_add_u32 m0, 0x900, s44                                   // 000000005270: 807C2CFF 00000900
	buffer_load_dword v32, s[4:7], 0 offen lds                 // 000000005278: E0511000 80010020
	v_mfma_f32_16x16x16_bf16 v[56:59], a[180:181], a[20:21], v[56:59]// 000000005280: D3E10038 1CE229B4
	s_add_u32 m0, 0xa00, s44                                   // 000000005288: 807C2CFF 00000A00
	buffer_load_dword v33, s[4:7], 0 offen lds                 // 000000005290: E0511000 80010021
	ds_read_b128 a[120:123], v43 offset:2560                   // 000000005298: DBFE0A00 7800002B
	ds_read_b128 a[124:127], v43 offset:2624                   // 0000000052A0: DBFE0A40 7C00002B
	v_mfma_f32_16x16x16_bf16 v[56:59], a[182:183], a[22:23], v[56:59]// 0000000052A8: D3E10038 1CE22DB6
	s_add_u32 m0, 0xb00, s44                                   // 0000000052B0: 807C2CFF 00000B00
	buffer_load_dword v34, s[4:7], 0 offen lds                 // 0000000052B8: E0511000 80010022
	v_mfma_f32_16x16x16_bf16 v[60:63], a[176:177], a[24:25], v[60:63]// 0000000052C0: D3E1003C 1CF231B0
	s_add_u32 m0, 0xc00, s44                                   // 0000000052C8: 807C2CFF 00000C00
	buffer_load_dword v35, s[4:7], 0 offen lds                 // 0000000052D0: E0511000 80010023
	ds_read_b128 a[128:131], v43 offset:3072                   // 0000000052D8: DBFE0C00 8000002B
	ds_read_b128 a[132:135], v43 offset:3136                   // 0000000052E0: DBFE0C40 8400002B
	v_mfma_f32_16x16x16_bf16 v[60:63], a[178:179], a[26:27], v[60:63]// 0000000052E8: D3E1003C 1CF235B2
	s_add_u32 m0, 0xd00, s44                                   // 0000000052F0: 807C2CFF 00000D00
	buffer_load_dword v36, s[4:7], 0 offen lds                 // 0000000052F8: E0511000 80010024
	v_mfma_f32_16x16x16_bf16 v[60:63], a[180:181], a[28:29], v[60:63]// 000000005300: D3E1003C 1CF239B4
	s_add_u32 m0, 0xe00, s44                                   // 000000005308: 807C2CFF 00000E00
	buffer_load_dword v37, s[4:7], 0 offen lds                 // 000000005310: E0511000 80010025
	ds_read_b128 a[136:139], v43 offset:3584                   // 000000005318: DBFE0E00 8800002B
	ds_read_b128 a[140:143], v43 offset:3648                   // 000000005320: DBFE0E40 8C00002B
	v_mfma_f32_16x16x16_bf16 v[60:63], a[182:183], a[30:31], v[60:63]// 000000005328: D3E1003C 1CF23DB6
	s_add_u32 m0, 0xf00, s44                                   // 000000005330: 807C2CFF 00000F00
	buffer_load_dword v38, s[4:7], 0 offen lds                 // 000000005338: E0511000 80010026
	v_mfma_f32_16x16x16_bf16 v[64:67], a[176:177], a[32:33], v[64:67]// 000000005340: D3E10040 1D0241B0
	s_add_u32 m0, 0x1000, s44                                  // 000000005348: 807C2CFF 00001000
	buffer_load_dword v39, s[4:7], 0 offen lds                 // 000000005350: E0511000 80010027
	ds_read_b128 a[144:147], v43 offset:4096                   // 000000005358: DBFE1000 9000002B
	ds_read_b128 a[148:151], v43 offset:4160                   // 000000005360: DBFE1040 9400002B
	v_mfma_f32_16x16x16_bf16 v[64:67], a[178:179], a[34:35], v[64:67]// 000000005368: D3E10040 1D0245B2
	s_add_u32 m0, 0x1100, s44                                  // 000000005370: 807C2CFF 00001100
	buffer_load_dword v40, s[4:7], 0 offen lds                 // 000000005378: E0511000 80010028
	v_mfma_f32_16x16x16_bf16 v[64:67], a[180:181], a[36:37], v[64:67]// 000000005380: D3E10040 1D0249B4
	s_add_u32 m0, 0x1200, s44                                  // 000000005388: 807C2CFF 00001200
	buffer_load_dword v41, s[4:7], 0 offen lds                 // 000000005390: E0511000 80010029
	ds_read_b128 a[152:155], v43 offset:4608                   // 000000005398: DBFE1200 9800002B
	ds_read_b128 a[156:159], v43 offset:4672                   // 0000000053A0: DBFE1240 9C00002B
	v_mfma_f32_16x16x16_bf16 v[64:67], a[182:183], a[38:39], v[64:67]// 0000000053A8: D3E10040 1D024DB6
	s_add_u32 m0, 0x1300, s44                                  // 0000000053B0: 807C2CFF 00001300
	buffer_load_dword v42, s[4:7], 0 offen lds                 // 0000000053B8: E0511000 8001002A
	v_mfma_f32_16x16x16_bf16 v[68:71], a[176:177], a[40:41], v[68:71]// 0000000053C0: D3E10044 1D1251B0
	s_add_u32 s31, 0x100, s33                                  // 0000000053C8: 801F21FF 00000100
	s_cmp_lt_u32 s31, s34                                      // 0000000053D0: BF0A221F
	s_cselect_b32 s40, s40, 0                                  // 0000000053D4: 85288028
	buffer_load_dwordx4 a[168:171], v44, s[8:11], 0 offen      // 0000000053D8: E05C1000 8082A82C
	s_add_u32 s4, s40, s4                                      // 0000000053E0: 80040428
	s_addc_u32 s5, 0, s5                                       // 0000000053E4: 82050580
	v_mfma_f32_16x16x16_bf16 v[68:71], a[178:179], a[42:43], v[68:71]// 0000000053E8: D3E10044 1D1255B2
	buffer_load_dwordx4 a[172:175], v45, s[8:11], 0 offen      // 0000000053F0: E05C1000 8082AC2D
	v_mfma_f32_16x16x16_bf16 v[68:71], a[180:181], a[44:45], v[68:71]// 0000000053F8: D3E10044 1D1259B4
	s_add_u32 s31, 0xc0, s33                                   // 000000005400: 801F21FF 000000C0
	s_cmp_lt_u32 s31, s34                                      // 000000005408: BF0A221F
	s_cselect_b32 s41, s41, 0                                  // 00000000540C: 85298029
	s_add_u32 s8, s41, s8                                      // 000000005410: 80080829
	s_addc_u32 s9, 0, s9                                       // 000000005414: 82090980
	v_mfma_f32_16x16x16_bf16 v[68:71], a[182:183], a[46:47], v[68:71]// 000000005418: D3E10044 1D125DB6
	v_mfma_f32_16x16x16_bf16 v[72:75], a[176:177], a[48:49], v[72:75]// 000000005420: D3E10048 1D2261B0
	v_mfma_f32_16x16x16_bf16 v[72:75], a[178:179], a[50:51], v[72:75]// 000000005428: D3E10048 1D2265B2
	v_mfma_f32_16x16x16_bf16 v[72:75], a[180:181], a[52:53], v[72:75]// 000000005430: D3E10048 1D2269B4
	v_mfma_f32_16x16x16_bf16 v[72:75], a[182:183], a[54:55], v[72:75]// 000000005438: D3E10048 1D226DB6
	v_mfma_f32_16x16x16_bf16 v[76:79], a[176:177], a[56:57], v[76:79]// 000000005440: D3E1004C 1D3271B0
	v_mfma_f32_16x16x16_bf16 v[76:79], a[178:179], a[58:59], v[76:79]// 000000005448: D3E1004C 1D3275B2
	v_mfma_f32_16x16x16_bf16 v[76:79], a[180:181], a[60:61], v[76:79]// 000000005450: D3E1004C 1D3279B4
	v_mfma_f32_16x16x16_bf16 v[76:79], a[182:183], a[62:63], v[76:79]// 000000005458: D3E1004C 1D327DB6
	v_mfma_f32_16x16x16_bf16 v[80:83], a[176:177], a[64:65], v[80:83]// 000000005460: D3E10050 1D4281B0
	v_mfma_f32_16x16x16_bf16 v[80:83], a[178:179], a[66:67], v[80:83]// 000000005468: D3E10050 1D4285B2
	v_mfma_f32_16x16x16_bf16 v[80:83], a[180:181], a[68:69], v[80:83]// 000000005470: D3E10050 1D4289B4
	v_mfma_f32_16x16x16_bf16 v[80:83], a[182:183], a[70:71], v[80:83]// 000000005478: D3E10050 1D428DB6
	v_mfma_f32_16x16x16_bf16 v[84:87], a[176:177], a[72:73], v[84:87]// 000000005480: D3E10054 1D5291B0
	v_mfma_f32_16x16x16_bf16 v[84:87], a[178:179], a[74:75], v[84:87]// 000000005488: D3E10054 1D5295B2
	v_mfma_f32_16x16x16_bf16 v[84:87], a[180:181], a[76:77], v[84:87]// 000000005490: D3E10054 1D5299B4
	v_mfma_f32_16x16x16_bf16 v[84:87], a[182:183], a[78:79], v[84:87]// 000000005498: D3E10054 1D529DB6
	s_addk_i32 s33, 0x40                                       // 0000000054A0: B7210040
	s_cmp_lt_i32 s33, s34                                      // 0000000054A4: BF042221
	s_cbranch_scc0 label_0D80                                  // 0000000054A8: BF840295
	s_waitcnt vmcnt(22) lgkmcnt(0)                             // 0000000054AC: BF8C4076
	s_barrier                                                  // 0000000054B0: BF8A0000
	v_mfma_f32_16x16x16_bf16 v[48:51], a[160:161], a[80:81], v[48:51]// 0000000054B4: D3E10030 1CC2A1A0
	s_add_u32 m0, 0, s42                                       // 0000000054BC: 807C2A80
	buffer_load_dword v23, s[4:7], 0 offen lds                 // 0000000054C0: E0511000 80010017
	ds_read_b128 a[0:3], v43 offset:20608                      // 0000000054C8: DBFE5080 0000002B
	ds_read_b128 a[4:7], v43 offset:20672                      // 0000000054D0: DBFE50C0 0400002B
	v_mfma_f32_16x16x16_bf16 v[48:51], a[162:163], a[82:83], v[48:51]// 0000000054D8: D3E10030 1CC2A5A2
	s_add_u32 m0, 0x100, s42                                   // 0000000054E0: 807C2AFF 00000100
	buffer_load_dword v24, s[4:7], 0 offen lds                 // 0000000054E8: E0511000 80010018
	v_mfma_f32_16x16x16_bf16 v[48:51], a[164:165], a[84:85], v[48:51]// 0000000054F0: D3E10030 1CC2A9A4
	s_add_u32 m0, 0x200, s42                                   // 0000000054F8: 807C2AFF 00000200
	buffer_load_dword v25, s[4:7], 0 offen lds                 // 000000005500: E0511000 80010019
	ds_read_b128 a[8:11], v43 offset:21120                     // 000000005508: DBFE5280 0800002B
	ds_read_b128 a[12:15], v43 offset:21184                    // 000000005510: DBFE52C0 0C00002B
	v_mfma_f32_16x16x16_bf16 v[48:51], a[166:167], a[86:87], v[48:51]// 000000005518: D3E10030 1CC2ADA6
	s_add_u32 m0, 0x300, s42                                   // 000000005520: 807C2AFF 00000300
	buffer_load_dword v26, s[4:7], 0 offen lds                 // 000000005528: E0511000 8001001A
	v_mfma_f32_16x16x16_bf16 v[52:55], a[160:161], a[88:89], v[52:55]// 000000005530: D3E10034 1CD2B1A0
	s_add_u32 m0, 0x400, s42                                   // 000000005538: 807C2AFF 00000400
	buffer_load_dword v27, s[4:7], 0 offen lds                 // 000000005540: E0511000 8001001B
	ds_read_b128 a[16:19], v43 offset:21632                    // 000000005548: DBFE5480 1000002B
	ds_read_b128 a[20:23], v43 offset:21696                    // 000000005550: DBFE54C0 1400002B
	v_mfma_f32_16x16x16_bf16 v[52:55], a[162:163], a[90:91], v[52:55]// 000000005558: D3E10034 1CD2B5A2
	s_add_u32 m0, 0x500, s42                                   // 000000005560: 807C2AFF 00000500
	buffer_load_dword v28, s[4:7], 0 offen lds                 // 000000005568: E0511000 8001001C
	v_mfma_f32_16x16x16_bf16 v[52:55], a[164:165], a[92:93], v[52:55]// 000000005570: D3E10034 1CD2B9A4
	s_add_u32 m0, 0x600, s42                                   // 000000005578: 807C2AFF 00000600
	buffer_load_dword v29, s[4:7], 0 offen lds                 // 000000005580: E0511000 8001001D
	ds_read_b128 a[24:27], v43 offset:22144                    // 000000005588: DBFE5680 1800002B
	ds_read_b128 a[28:31], v43 offset:22208                    // 000000005590: DBFE56C0 1C00002B
	v_mfma_f32_16x16x16_bf16 v[52:55], a[166:167], a[94:95], v[52:55]// 000000005598: D3E10034 1CD2BDA6
	s_add_u32 m0, 0x700, s42                                   // 0000000055A0: 807C2AFF 00000700
	buffer_load_dword v30, s[4:7], 0 offen lds                 // 0000000055A8: E0511000 8001001E
	v_mfma_f32_16x16x16_bf16 v[56:59], a[160:161], a[96:97], v[56:59]// 0000000055B0: D3E10038 1CE2C1A0
	s_add_u32 m0, 0x800, s42                                   // 0000000055B8: 807C2AFF 00000800
	buffer_load_dword v31, s[4:7], 0 offen lds                 // 0000000055C0: E0511000 8001001F
	ds_read_b128 a[32:35], v43 offset:22656                    // 0000000055C8: DBFE5880 2000002B
	ds_read_b128 a[36:39], v43 offset:22720                    // 0000000055D0: DBFE58C0 2400002B
	v_mfma_f32_16x16x16_bf16 v[56:59], a[162:163], a[98:99], v[56:59]// 0000000055D8: D3E10038 1CE2C5A2
	s_add_u32 m0, 0x900, s42                                   // 0000000055E0: 807C2AFF 00000900
	buffer_load_dword v32, s[4:7], 0 offen lds                 // 0000000055E8: E0511000 80010020
	v_mfma_f32_16x16x16_bf16 v[56:59], a[164:165], a[100:101], v[56:59]// 0000000055F0: D3E10038 1CE2C9A4
	s_add_u32 m0, 0xa00, s42                                   // 0000000055F8: 807C2AFF 00000A00
	buffer_load_dword v33, s[4:7], 0 offen lds                 // 000000005600: E0511000 80010021
	ds_read_b128 a[40:43], v43 offset:23168                    // 000000005608: DBFE5A80 2800002B
	ds_read_b128 a[44:47], v43 offset:23232                    // 000000005610: DBFE5AC0 2C00002B
	v_mfma_f32_16x16x16_bf16 v[56:59], a[166:167], a[102:103], v[56:59]// 000000005618: D3E10038 1CE2CDA6
	s_add_u32 m0, 0xb00, s42                                   // 000000005620: 807C2AFF 00000B00
	buffer_load_dword v34, s[4:7], 0 offen lds                 // 000000005628: E0511000 80010022
	v_mfma_f32_16x16x16_bf16 v[60:63], a[160:161], a[104:105], v[60:63]// 000000005630: D3E1003C 1CF2D1A0
	s_add_u32 m0, 0xc00, s42                                   // 000000005638: 807C2AFF 00000C00
	buffer_load_dword v35, s[4:7], 0 offen lds                 // 000000005640: E0511000 80010023
	ds_read_b128 a[48:51], v43 offset:23680                    // 000000005648: DBFE5C80 3000002B
	ds_read_b128 a[52:55], v43 offset:23744                    // 000000005650: DBFE5CC0 3400002B
	v_mfma_f32_16x16x16_bf16 v[60:63], a[162:163], a[106:107], v[60:63]// 000000005658: D3E1003C 1CF2D5A2
	s_add_u32 m0, 0xd00, s42                                   // 000000005660: 807C2AFF 00000D00
	buffer_load_dword v36, s[4:7], 0 offen lds                 // 000000005668: E0511000 80010024
	v_mfma_f32_16x16x16_bf16 v[60:63], a[164:165], a[108:109], v[60:63]// 000000005670: D3E1003C 1CF2D9A4
	s_add_u32 m0, 0xe00, s42                                   // 000000005678: 807C2AFF 00000E00
	buffer_load_dword v37, s[4:7], 0 offen lds                 // 000000005680: E0511000 80010025
	ds_read_b128 a[56:59], v43 offset:24192                    // 000000005688: DBFE5E80 3800002B
	ds_read_b128 a[60:63], v43 offset:24256                    // 000000005690: DBFE5EC0 3C00002B
	v_mfma_f32_16x16x16_bf16 v[60:63], a[166:167], a[110:111], v[60:63]// 000000005698: D3E1003C 1CF2DDA6
	s_add_u32 m0, 0xf00, s42                                   // 0000000056A0: 807C2AFF 00000F00
	buffer_load_dword v38, s[4:7], 0 offen lds                 // 0000000056A8: E0511000 80010026
	v_mfma_f32_16x16x16_bf16 v[64:67], a[160:161], a[112:113], v[64:67]// 0000000056B0: D3E10040 1D02E1A0
	s_add_u32 m0, 0x1000, s42                                  // 0000000056B8: 807C2AFF 00001000
	buffer_load_dword v39, s[4:7], 0 offen lds                 // 0000000056C0: E0511000 80010027
	ds_read_b128 a[64:67], v43 offset:24704                    // 0000000056C8: DBFE6080 4000002B
	ds_read_b128 a[68:71], v43 offset:24768                    // 0000000056D0: DBFE60C0 4400002B
	v_mfma_f32_16x16x16_bf16 v[64:67], a[162:163], a[114:115], v[64:67]// 0000000056D8: D3E10040 1D02E5A2
	s_add_u32 m0, 0x1100, s42                                  // 0000000056E0: 807C2AFF 00001100
	buffer_load_dword v40, s[4:7], 0 offen lds                 // 0000000056E8: E0511000 80010028
	v_mfma_f32_16x16x16_bf16 v[64:67], a[164:165], a[116:117], v[64:67]// 0000000056F0: D3E10040 1D02E9A4
	s_add_u32 m0, 0x1200, s42                                  // 0000000056F8: 807C2AFF 00001200
	buffer_load_dword v41, s[4:7], 0 offen lds                 // 000000005700: E0511000 80010029
	ds_read_b128 a[72:75], v43 offset:25216                    // 000000005708: DBFE6280 4800002B
	ds_read_b128 a[76:79], v43 offset:25280                    // 000000005710: DBFE62C0 4C00002B
	v_mfma_f32_16x16x16_bf16 v[64:67], a[166:167], a[118:119], v[64:67]// 000000005718: D3E10040 1D02EDA6
	s_add_u32 m0, 0x1300, s42                                  // 000000005720: 807C2AFF 00001300
	buffer_load_dword v42, s[4:7], 0 offen lds                 // 000000005728: E0511000 8001002A
	v_mfma_f32_16x16x16_bf16 v[68:71], a[160:161], a[120:121], v[68:71]// 000000005730: D3E10044 1D12F1A0
	s_add_u32 s31, 0x100, s33                                  // 000000005738: 801F21FF 00000100
	s_cmp_lt_u32 s31, s34                                      // 000000005740: BF0A221F
	s_cselect_b32 s40, s40, 0                                  // 000000005744: 85288028
	buffer_load_dwordx4 a[176:179], v44, s[8:11], 0 offen      // 000000005748: E05C1000 8082B02C
	s_add_u32 s4, s40, s4                                      // 000000005750: 80040428
	s_addc_u32 s5, 0, s5                                       // 000000005754: 82050580
	v_mfma_f32_16x16x16_bf16 v[68:71], a[162:163], a[122:123], v[68:71]// 000000005758: D3E10044 1D12F5A2
	buffer_load_dwordx4 a[180:183], v45, s[8:11], 0 offen      // 000000005760: E05C1000 8082B42D
	v_mfma_f32_16x16x16_bf16 v[68:71], a[164:165], a[124:125], v[68:71]// 000000005768: D3E10044 1D12F9A4
	s_add_u32 s31, 0xc0, s33                                   // 000000005770: 801F21FF 000000C0
	s_cmp_lt_u32 s31, s34                                      // 000000005778: BF0A221F
	s_cselect_b32 s41, s41, 0                                  // 00000000577C: 85298029
	s_add_u32 s8, s41, s8                                      // 000000005780: 80080829
	s_addc_u32 s9, 0, s9                                       // 000000005784: 82090980
	v_mfma_f32_16x16x16_bf16 v[68:71], a[166:167], a[126:127], v[68:71]// 000000005788: D3E10044 1D12FDA6
	v_mfma_f32_16x16x16_bf16 v[72:75], a[160:161], a[128:129], v[72:75]// 000000005790: D3E10048 1D2301A0
	v_mfma_f32_16x16x16_bf16 v[72:75], a[162:163], a[130:131], v[72:75]// 000000005798: D3E10048 1D2305A2
	v_mfma_f32_16x16x16_bf16 v[72:75], a[164:165], a[132:133], v[72:75]// 0000000057A0: D3E10048 1D2309A4
	v_mfma_f32_16x16x16_bf16 v[72:75], a[166:167], a[134:135], v[72:75]// 0000000057A8: D3E10048 1D230DA6
	v_mfma_f32_16x16x16_bf16 v[76:79], a[160:161], a[136:137], v[76:79]// 0000000057B0: D3E1004C 1D3311A0
	v_mfma_f32_16x16x16_bf16 v[76:79], a[162:163], a[138:139], v[76:79]// 0000000057B8: D3E1004C 1D3315A2
	v_mfma_f32_16x16x16_bf16 v[76:79], a[164:165], a[140:141], v[76:79]// 0000000057C0: D3E1004C 1D3319A4
	v_mfma_f32_16x16x16_bf16 v[76:79], a[166:167], a[142:143], v[76:79]// 0000000057C8: D3E1004C 1D331DA6
	v_mfma_f32_16x16x16_bf16 v[80:83], a[160:161], a[144:145], v[80:83]// 0000000057D0: D3E10050 1D4321A0
	v_mfma_f32_16x16x16_bf16 v[80:83], a[162:163], a[146:147], v[80:83]// 0000000057D8: D3E10050 1D4325A2
	v_mfma_f32_16x16x16_bf16 v[80:83], a[164:165], a[148:149], v[80:83]// 0000000057E0: D3E10050 1D4329A4
	v_mfma_f32_16x16x16_bf16 v[80:83], a[166:167], a[150:151], v[80:83]// 0000000057E8: D3E10050 1D432DA6
	v_mfma_f32_16x16x16_bf16 v[84:87], a[160:161], a[152:153], v[84:87]// 0000000057F0: D3E10054 1D5331A0
	v_mfma_f32_16x16x16_bf16 v[84:87], a[162:163], a[154:155], v[84:87]// 0000000057F8: D3E10054 1D5335A2
	v_mfma_f32_16x16x16_bf16 v[84:87], a[164:165], a[156:157], v[84:87]// 000000005800: D3E10054 1D5339A4
	v_mfma_f32_16x16x16_bf16 v[84:87], a[166:167], a[158:159], v[84:87]// 000000005808: D3E10054 1D533DA6
	s_addk_i32 s33, 0x40                                       // 000000005810: B7210040
	s_cmp_lt_i32 s33, s34                                      // 000000005814: BF042221
	s_cbranch_scc0 label_0D80                                  // 000000005818: BF8401B9
	s_waitcnt vmcnt(22) lgkmcnt(0)                             // 00000000581C: BF8C4076
	s_barrier                                                  // 000000005820: BF8A0000
	v_mfma_f32_16x16x16_bf16 v[48:51], a[168:169], a[0:1], v[48:51]// 000000005824: D3E10030 1CC201A8
	s_add_u32 m0, 0, s43                                       // 00000000582C: 807C2B80
	buffer_load_dword v23, s[4:7], 0 offen lds                 // 000000005830: E0511000 80010017
	ds_read_b128 a[80:83], v43 offset:41216                    // 000000005838: DBFEA100 5000002B
	ds_read_b128 a[84:87], v43 offset:41280                    // 000000005840: DBFEA140 5400002B
	v_mfma_f32_16x16x16_bf16 v[48:51], a[170:171], a[2:3], v[48:51]// 000000005848: D3E10030 1CC205AA
	s_add_u32 m0, 0x100, s43                                   // 000000005850: 807C2BFF 00000100
	buffer_load_dword v24, s[4:7], 0 offen lds                 // 000000005858: E0511000 80010018
	v_mfma_f32_16x16x16_bf16 v[48:51], a[172:173], a[4:5], v[48:51]// 000000005860: D3E10030 1CC209AC
	s_add_u32 m0, 0x200, s43                                   // 000000005868: 807C2BFF 00000200
	buffer_load_dword v25, s[4:7], 0 offen lds                 // 000000005870: E0511000 80010019
	ds_read_b128 a[88:91], v43 offset:41728                    // 000000005878: DBFEA300 5800002B
	ds_read_b128 a[92:95], v43 offset:41792                    // 000000005880: DBFEA340 5C00002B
	v_mfma_f32_16x16x16_bf16 v[48:51], a[174:175], a[6:7], v[48:51]// 000000005888: D3E10030 1CC20DAE
	s_add_u32 m0, 0x300, s43                                   // 000000005890: 807C2BFF 00000300
	buffer_load_dword v26, s[4:7], 0 offen lds                 // 000000005898: E0511000 8001001A
	v_mfma_f32_16x16x16_bf16 v[52:55], a[168:169], a[8:9], v[52:55]// 0000000058A0: D3E10034 1CD211A8
	s_add_u32 m0, 0x400, s43                                   // 0000000058A8: 807C2BFF 00000400
	buffer_load_dword v27, s[4:7], 0 offen lds                 // 0000000058B0: E0511000 8001001B
	ds_read_b128 a[96:99], v43 offset:42240                    // 0000000058B8: DBFEA500 6000002B
	ds_read_b128 a[100:103], v43 offset:42304                  // 0000000058C0: DBFEA540 6400002B
	v_mfma_f32_16x16x16_bf16 v[52:55], a[170:171], a[10:11], v[52:55]// 0000000058C8: D3E10034 1CD215AA
	s_add_u32 m0, 0x500, s43                                   // 0000000058D0: 807C2BFF 00000500
	buffer_load_dword v28, s[4:7], 0 offen lds                 // 0000000058D8: E0511000 8001001C
	v_mfma_f32_16x16x16_bf16 v[52:55], a[172:173], a[12:13], v[52:55]// 0000000058E0: D3E10034 1CD219AC
	s_add_u32 m0, 0x600, s43                                   // 0000000058E8: 807C2BFF 00000600
	buffer_load_dword v29, s[4:7], 0 offen lds                 // 0000000058F0: E0511000 8001001D
	ds_read_b128 a[104:107], v43 offset:42752                  // 0000000058F8: DBFEA700 6800002B
	ds_read_b128 a[108:111], v43 offset:42816                  // 000000005900: DBFEA740 6C00002B
	v_mfma_f32_16x16x16_bf16 v[52:55], a[174:175], a[14:15], v[52:55]// 000000005908: D3E10034 1CD21DAE
	s_add_u32 m0, 0x700, s43                                   // 000000005910: 807C2BFF 00000700
	buffer_load_dword v30, s[4:7], 0 offen lds                 // 000000005918: E0511000 8001001E
	v_mfma_f32_16x16x16_bf16 v[56:59], a[168:169], a[16:17], v[56:59]// 000000005920: D3E10038 1CE221A8
	s_add_u32 m0, 0x800, s43                                   // 000000005928: 807C2BFF 00000800
	buffer_load_dword v31, s[4:7], 0 offen lds                 // 000000005930: E0511000 8001001F
	ds_read_b128 a[112:115], v43 offset:43264                  // 000000005938: DBFEA900 7000002B
	ds_read_b128 a[116:119], v43 offset:43328                  // 000000005940: DBFEA940 7400002B
	v_mfma_f32_16x16x16_bf16 v[56:59], a[170:171], a[18:19], v[56:59]// 000000005948: D3E10038 1CE225AA
	s_add_u32 m0, 0x900, s43                                   // 000000005950: 807C2BFF 00000900
	buffer_load_dword v32, s[4:7], 0 offen lds                 // 000000005958: E0511000 80010020
	v_mfma_f32_16x16x16_bf16 v[56:59], a[172:173], a[20:21], v[56:59]// 000000005960: D3E10038 1CE229AC
	s_add_u32 m0, 0xa00, s43                                   // 000000005968: 807C2BFF 00000A00
	buffer_load_dword v33, s[4:7], 0 offen lds                 // 000000005970: E0511000 80010021
	ds_read_b128 a[120:123], v43 offset:43776                  // 000000005978: DBFEAB00 7800002B
	ds_read_b128 a[124:127], v43 offset:43840                  // 000000005980: DBFEAB40 7C00002B
	v_mfma_f32_16x16x16_bf16 v[56:59], a[174:175], a[22:23], v[56:59]// 000000005988: D3E10038 1CE22DAE
	s_add_u32 m0, 0xb00, s43                                   // 000000005990: 807C2BFF 00000B00
	buffer_load_dword v34, s[4:7], 0 offen lds                 // 000000005998: E0511000 80010022
	v_mfma_f32_16x16x16_bf16 v[60:63], a[168:169], a[24:25], v[60:63]// 0000000059A0: D3E1003C 1CF231A8
	s_add_u32 m0, 0xc00, s43                                   // 0000000059A8: 807C2BFF 00000C00
	buffer_load_dword v35, s[4:7], 0 offen lds                 // 0000000059B0: E0511000 80010023
	ds_read_b128 a[128:131], v43 offset:44288                  // 0000000059B8: DBFEAD00 8000002B
	ds_read_b128 a[132:135], v43 offset:44352                  // 0000000059C0: DBFEAD40 8400002B
	v_mfma_f32_16x16x16_bf16 v[60:63], a[170:171], a[26:27], v[60:63]// 0000000059C8: D3E1003C 1CF235AA
	s_add_u32 m0, 0xd00, s43                                   // 0000000059D0: 807C2BFF 00000D00
	buffer_load_dword v36, s[4:7], 0 offen lds                 // 0000000059D8: E0511000 80010024
	v_mfma_f32_16x16x16_bf16 v[60:63], a[172:173], a[28:29], v[60:63]// 0000000059E0: D3E1003C 1CF239AC
	s_add_u32 m0, 0xe00, s43                                   // 0000000059E8: 807C2BFF 00000E00
	buffer_load_dword v37, s[4:7], 0 offen lds                 // 0000000059F0: E0511000 80010025
	ds_read_b128 a[136:139], v43 offset:44800                  // 0000000059F8: DBFEAF00 8800002B
	ds_read_b128 a[140:143], v43 offset:44864                  // 000000005A00: DBFEAF40 8C00002B
	v_mfma_f32_16x16x16_bf16 v[60:63], a[174:175], a[30:31], v[60:63]// 000000005A08: D3E1003C 1CF23DAE
	s_add_u32 m0, 0xf00, s43                                   // 000000005A10: 807C2BFF 00000F00
	buffer_load_dword v38, s[4:7], 0 offen lds                 // 000000005A18: E0511000 80010026
	v_mfma_f32_16x16x16_bf16 v[64:67], a[168:169], a[32:33], v[64:67]// 000000005A20: D3E10040 1D0241A8
	s_add_u32 m0, 0x1000, s43                                  // 000000005A28: 807C2BFF 00001000
	buffer_load_dword v39, s[4:7], 0 offen lds                 // 000000005A30: E0511000 80010027
	ds_read_b128 a[144:147], v43 offset:45312                  // 000000005A38: DBFEB100 9000002B
	ds_read_b128 a[148:151], v43 offset:45376                  // 000000005A40: DBFEB140 9400002B
	v_mfma_f32_16x16x16_bf16 v[64:67], a[170:171], a[34:35], v[64:67]// 000000005A48: D3E10040 1D0245AA
	s_add_u32 m0, 0x1100, s43                                  // 000000005A50: 807C2BFF 00001100
	buffer_load_dword v40, s[4:7], 0 offen lds                 // 000000005A58: E0511000 80010028
	v_mfma_f32_16x16x16_bf16 v[64:67], a[172:173], a[36:37], v[64:67]// 000000005A60: D3E10040 1D0249AC
	s_add_u32 m0, 0x1200, s43                                  // 000000005A68: 807C2BFF 00001200
	buffer_load_dword v41, s[4:7], 0 offen lds                 // 000000005A70: E0511000 80010029
	ds_read_b128 a[152:155], v43 offset:45824                  // 000000005A78: DBFEB300 9800002B
	ds_read_b128 a[156:159], v43 offset:45888                  // 000000005A80: DBFEB340 9C00002B
	v_mfma_f32_16x16x16_bf16 v[64:67], a[174:175], a[38:39], v[64:67]// 000000005A88: D3E10040 1D024DAE
	s_add_u32 m0, 0x1300, s43                                  // 000000005A90: 807C2BFF 00001300
	buffer_load_dword v42, s[4:7], 0 offen lds                 // 000000005A98: E0511000 8001002A
	v_mfma_f32_16x16x16_bf16 v[68:71], a[168:169], a[40:41], v[68:71]// 000000005AA0: D3E10044 1D1251A8
	s_add_u32 s31, 0x100, s33                                  // 000000005AA8: 801F21FF 00000100
	s_cmp_lt_u32 s31, s34                                      // 000000005AB0: BF0A221F
	s_cselect_b32 s40, s40, 0                                  // 000000005AB4: 85288028
	buffer_load_dwordx4 a[160:163], v44, s[8:11], 0 offen      // 000000005AB8: E05C1000 8082A02C
	s_add_u32 s4, s40, s4                                      // 000000005AC0: 80040428
	s_addc_u32 s5, 0, s5                                       // 000000005AC4: 82050580
	v_mfma_f32_16x16x16_bf16 v[68:71], a[170:171], a[42:43], v[68:71]// 000000005AC8: D3E10044 1D1255AA
	buffer_load_dwordx4 a[164:167], v45, s[8:11], 0 offen      // 000000005AD0: E05C1000 8082A42D
	v_mfma_f32_16x16x16_bf16 v[68:71], a[172:173], a[44:45], v[68:71]// 000000005AD8: D3E10044 1D1259AC
	s_add_u32 s31, 0xc0, s33                                   // 000000005AE0: 801F21FF 000000C0
	s_cmp_lt_u32 s31, s34                                      // 000000005AE8: BF0A221F
	s_cselect_b32 s41, s41, 0                                  // 000000005AEC: 85298029
	s_add_u32 s8, s41, s8                                      // 000000005AF0: 80080829
	s_addc_u32 s9, 0, s9                                       // 000000005AF4: 82090980
	v_mfma_f32_16x16x16_bf16 v[68:71], a[174:175], a[46:47], v[68:71]// 000000005AF8: D3E10044 1D125DAE
	v_mfma_f32_16x16x16_bf16 v[72:75], a[168:169], a[48:49], v[72:75]// 000000005B00: D3E10048 1D2261A8
	v_mfma_f32_16x16x16_bf16 v[72:75], a[170:171], a[50:51], v[72:75]// 000000005B08: D3E10048 1D2265AA
	v_mfma_f32_16x16x16_bf16 v[72:75], a[172:173], a[52:53], v[72:75]// 000000005B10: D3E10048 1D2269AC
	v_mfma_f32_16x16x16_bf16 v[72:75], a[174:175], a[54:55], v[72:75]// 000000005B18: D3E10048 1D226DAE
	v_mfma_f32_16x16x16_bf16 v[76:79], a[168:169], a[56:57], v[76:79]// 000000005B20: D3E1004C 1D3271A8
	v_mfma_f32_16x16x16_bf16 v[76:79], a[170:171], a[58:59], v[76:79]// 000000005B28: D3E1004C 1D3275AA
	v_mfma_f32_16x16x16_bf16 v[76:79], a[172:173], a[60:61], v[76:79]// 000000005B30: D3E1004C 1D3279AC
	v_mfma_f32_16x16x16_bf16 v[76:79], a[174:175], a[62:63], v[76:79]// 000000005B38: D3E1004C 1D327DAE
	v_mfma_f32_16x16x16_bf16 v[80:83], a[168:169], a[64:65], v[80:83]// 000000005B40: D3E10050 1D4281A8
	v_mfma_f32_16x16x16_bf16 v[80:83], a[170:171], a[66:67], v[80:83]// 000000005B48: D3E10050 1D4285AA
	v_mfma_f32_16x16x16_bf16 v[80:83], a[172:173], a[68:69], v[80:83]// 000000005B50: D3E10050 1D4289AC
	v_mfma_f32_16x16x16_bf16 v[80:83], a[174:175], a[70:71], v[80:83]// 000000005B58: D3E10050 1D428DAE
	v_mfma_f32_16x16x16_bf16 v[84:87], a[168:169], a[72:73], v[84:87]// 000000005B60: D3E10054 1D5291A8
	v_mfma_f32_16x16x16_bf16 v[84:87], a[170:171], a[74:75], v[84:87]// 000000005B68: D3E10054 1D5295AA
	v_mfma_f32_16x16x16_bf16 v[84:87], a[172:173], a[76:77], v[84:87]// 000000005B70: D3E10054 1D5299AC
	v_mfma_f32_16x16x16_bf16 v[84:87], a[174:175], a[78:79], v[84:87]// 000000005B78: D3E10054 1D529DAE
	s_addk_i32 s33, 0x40                                       // 000000005B80: B7210040
	s_cmp_lt_i32 s33, s34                                      // 000000005B84: BF042221
	s_cbranch_scc0 label_0D80                                  // 000000005B88: BF8400DD
	s_waitcnt vmcnt(22) lgkmcnt(0)                             // 000000005B8C: BF8C4076
	s_barrier                                                  // 000000005B90: BF8A0000
	v_mfma_f32_16x16x16_bf16 v[48:51], a[176:177], a[80:81], v[48:51]// 000000005B94: D3E10030 1CC2A1B0
	s_add_u32 m0, 0, s44                                       // 000000005B9C: 807C2C80
	buffer_load_dword v23, s[4:7], 0 offen lds                 // 000000005BA0: E0511000 80010017
	ds_read_b128 a[0:3], v43                                   // 000000005BA8: DBFE0000 0000002B
	ds_read_b128 a[4:7], v43 offset:64                         // 000000005BB0: DBFE0040 0400002B
	v_mfma_f32_16x16x16_bf16 v[48:51], a[178:179], a[82:83], v[48:51]// 000000005BB8: D3E10030 1CC2A5B2
	s_add_u32 m0, 0x100, s44                                   // 000000005BC0: 807C2CFF 00000100
	buffer_load_dword v24, s[4:7], 0 offen lds                 // 000000005BC8: E0511000 80010018
	v_mfma_f32_16x16x16_bf16 v[48:51], a[180:181], a[84:85], v[48:51]// 000000005BD0: D3E10030 1CC2A9B4
	s_add_u32 m0, 0x200, s44                                   // 000000005BD8: 807C2CFF 00000200
	buffer_load_dword v25, s[4:7], 0 offen lds                 // 000000005BE0: E0511000 80010019
	ds_read_b128 a[8:11], v43 offset:512                       // 000000005BE8: DBFE0200 0800002B
	ds_read_b128 a[12:15], v43 offset:576                      // 000000005BF0: DBFE0240 0C00002B
	v_mfma_f32_16x16x16_bf16 v[48:51], a[182:183], a[86:87], v[48:51]// 000000005BF8: D3E10030 1CC2ADB6
	s_add_u32 m0, 0x300, s44                                   // 000000005C00: 807C2CFF 00000300
	buffer_load_dword v26, s[4:7], 0 offen lds                 // 000000005C08: E0511000 8001001A
	v_mfma_f32_16x16x16_bf16 v[52:55], a[176:177], a[88:89], v[52:55]// 000000005C10: D3E10034 1CD2B1B0
	s_add_u32 m0, 0x400, s44                                   // 000000005C18: 807C2CFF 00000400
	buffer_load_dword v27, s[4:7], 0 offen lds                 // 000000005C20: E0511000 8001001B
	ds_read_b128 a[16:19], v43 offset:1024                     // 000000005C28: DBFE0400 1000002B
	ds_read_b128 a[20:23], v43 offset:1088                     // 000000005C30: DBFE0440 1400002B
	v_mfma_f32_16x16x16_bf16 v[52:55], a[178:179], a[90:91], v[52:55]// 000000005C38: D3E10034 1CD2B5B2
	s_add_u32 m0, 0x500, s44                                   // 000000005C40: 807C2CFF 00000500
	buffer_load_dword v28, s[4:7], 0 offen lds                 // 000000005C48: E0511000 8001001C
	v_mfma_f32_16x16x16_bf16 v[52:55], a[180:181], a[92:93], v[52:55]// 000000005C50: D3E10034 1CD2B9B4
	s_add_u32 m0, 0x600, s44                                   // 000000005C58: 807C2CFF 00000600
	buffer_load_dword v29, s[4:7], 0 offen lds                 // 000000005C60: E0511000 8001001D
	ds_read_b128 a[24:27], v43 offset:1536                     // 000000005C68: DBFE0600 1800002B
	ds_read_b128 a[28:31], v43 offset:1600                     // 000000005C70: DBFE0640 1C00002B
	v_mfma_f32_16x16x16_bf16 v[52:55], a[182:183], a[94:95], v[52:55]// 000000005C78: D3E10034 1CD2BDB6
	s_add_u32 m0, 0x700, s44                                   // 000000005C80: 807C2CFF 00000700
	buffer_load_dword v30, s[4:7], 0 offen lds                 // 000000005C88: E0511000 8001001E
	v_mfma_f32_16x16x16_bf16 v[56:59], a[176:177], a[96:97], v[56:59]// 000000005C90: D3E10038 1CE2C1B0
	s_add_u32 m0, 0x800, s44                                   // 000000005C98: 807C2CFF 00000800
	buffer_load_dword v31, s[4:7], 0 offen lds                 // 000000005CA0: E0511000 8001001F
	ds_read_b128 a[32:35], v43 offset:2048                     // 000000005CA8: DBFE0800 2000002B
	ds_read_b128 a[36:39], v43 offset:2112                     // 000000005CB0: DBFE0840 2400002B
	v_mfma_f32_16x16x16_bf16 v[56:59], a[178:179], a[98:99], v[56:59]// 000000005CB8: D3E10038 1CE2C5B2
	s_add_u32 m0, 0x900, s44                                   // 000000005CC0: 807C2CFF 00000900
	buffer_load_dword v32, s[4:7], 0 offen lds                 // 000000005CC8: E0511000 80010020
	v_mfma_f32_16x16x16_bf16 v[56:59], a[180:181], a[100:101], v[56:59]// 000000005CD0: D3E10038 1CE2C9B4
	s_add_u32 m0, 0xa00, s44                                   // 000000005CD8: 807C2CFF 00000A00
	buffer_load_dword v33, s[4:7], 0 offen lds                 // 000000005CE0: E0511000 80010021
	ds_read_b128 a[40:43], v43 offset:2560                     // 000000005CE8: DBFE0A00 2800002B
	ds_read_b128 a[44:47], v43 offset:2624                     // 000000005CF0: DBFE0A40 2C00002B
	v_mfma_f32_16x16x16_bf16 v[56:59], a[182:183], a[102:103], v[56:59]// 000000005CF8: D3E10038 1CE2CDB6
	s_add_u32 m0, 0xb00, s44                                   // 000000005D00: 807C2CFF 00000B00
	buffer_load_dword v34, s[4:7], 0 offen lds                 // 000000005D08: E0511000 80010022
	v_mfma_f32_16x16x16_bf16 v[60:63], a[176:177], a[104:105], v[60:63]// 000000005D10: D3E1003C 1CF2D1B0
	s_add_u32 m0, 0xc00, s44                                   // 000000005D18: 807C2CFF 00000C00
	buffer_load_dword v35, s[4:7], 0 offen lds                 // 000000005D20: E0511000 80010023
	ds_read_b128 a[48:51], v43 offset:3072                     // 000000005D28: DBFE0C00 3000002B
	ds_read_b128 a[52:55], v43 offset:3136                     // 000000005D30: DBFE0C40 3400002B
	v_mfma_f32_16x16x16_bf16 v[60:63], a[178:179], a[106:107], v[60:63]// 000000005D38: D3E1003C 1CF2D5B2
	s_add_u32 m0, 0xd00, s44                                   // 000000005D40: 807C2CFF 00000D00
	buffer_load_dword v36, s[4:7], 0 offen lds                 // 000000005D48: E0511000 80010024
	v_mfma_f32_16x16x16_bf16 v[60:63], a[180:181], a[108:109], v[60:63]// 000000005D50: D3E1003C 1CF2D9B4
	s_add_u32 m0, 0xe00, s44                                   // 000000005D58: 807C2CFF 00000E00
	buffer_load_dword v37, s[4:7], 0 offen lds                 // 000000005D60: E0511000 80010025
	ds_read_b128 a[56:59], v43 offset:3584                     // 000000005D68: DBFE0E00 3800002B
	ds_read_b128 a[60:63], v43 offset:3648                     // 000000005D70: DBFE0E40 3C00002B
	v_mfma_f32_16x16x16_bf16 v[60:63], a[182:183], a[110:111], v[60:63]// 000000005D78: D3E1003C 1CF2DDB6
	s_add_u32 m0, 0xf00, s44                                   // 000000005D80: 807C2CFF 00000F00
	buffer_load_dword v38, s[4:7], 0 offen lds                 // 000000005D88: E0511000 80010026
	v_mfma_f32_16x16x16_bf16 v[64:67], a[176:177], a[112:113], v[64:67]// 000000005D90: D3E10040 1D02E1B0
	s_add_u32 m0, 0x1000, s44                                  // 000000005D98: 807C2CFF 00001000
	buffer_load_dword v39, s[4:7], 0 offen lds                 // 000000005DA0: E0511000 80010027
	ds_read_b128 a[64:67], v43 offset:4096                     // 000000005DA8: DBFE1000 4000002B
	ds_read_b128 a[68:71], v43 offset:4160                     // 000000005DB0: DBFE1040 4400002B
	v_mfma_f32_16x16x16_bf16 v[64:67], a[178:179], a[114:115], v[64:67]// 000000005DB8: D3E10040 1D02E5B2
	s_add_u32 m0, 0x1100, s44                                  // 000000005DC0: 807C2CFF 00001100
	buffer_load_dword v40, s[4:7], 0 offen lds                 // 000000005DC8: E0511000 80010028
	v_mfma_f32_16x16x16_bf16 v[64:67], a[180:181], a[116:117], v[64:67]// 000000005DD0: D3E10040 1D02E9B4
	s_add_u32 m0, 0x1200, s44                                  // 000000005DD8: 807C2CFF 00001200
	buffer_load_dword v41, s[4:7], 0 offen lds                 // 000000005DE0: E0511000 80010029
	ds_read_b128 a[72:75], v43 offset:4608                     // 000000005DE8: DBFE1200 4800002B
	ds_read_b128 a[76:79], v43 offset:4672                     // 000000005DF0: DBFE1240 4C00002B
	v_mfma_f32_16x16x16_bf16 v[64:67], a[182:183], a[118:119], v[64:67]// 000000005DF8: D3E10040 1D02EDB6
	s_add_u32 m0, 0x1300, s44                                  // 000000005E00: 807C2CFF 00001300
	buffer_load_dword v42, s[4:7], 0 offen lds                 // 000000005E08: E0511000 8001002A
	v_mfma_f32_16x16x16_bf16 v[68:71], a[176:177], a[120:121], v[68:71]// 000000005E10: D3E10044 1D12F1B0
	s_add_u32 s31, 0x100, s33                                  // 000000005E18: 801F21FF 00000100
	s_cmp_lt_u32 s31, s34                                      // 000000005E20: BF0A221F
	s_cselect_b32 s40, s40, 0                                  // 000000005E24: 85288028
	buffer_load_dwordx4 a[168:171], v44, s[8:11], 0 offen      // 000000005E28: E05C1000 8082A82C
	s_add_u32 s4, s40, s4                                      // 000000005E30: 80040428
	s_addc_u32 s5, 0, s5                                       // 000000005E34: 82050580
	v_mfma_f32_16x16x16_bf16 v[68:71], a[178:179], a[122:123], v[68:71]// 000000005E38: D3E10044 1D12F5B2
	buffer_load_dwordx4 a[172:175], v45, s[8:11], 0 offen      // 000000005E40: E05C1000 8082AC2D
	v_mfma_f32_16x16x16_bf16 v[68:71], a[180:181], a[124:125], v[68:71]// 000000005E48: D3E10044 1D12F9B4
	s_add_u32 s31, 0xc0, s33                                   // 000000005E50: 801F21FF 000000C0
	s_cmp_lt_u32 s31, s34                                      // 000000005E58: BF0A221F
	s_cselect_b32 s41, s41, 0                                  // 000000005E5C: 85298029
	s_add_u32 s8, s41, s8                                      // 000000005E60: 80080829
	s_addc_u32 s9, 0, s9                                       // 000000005E64: 82090980
	v_mfma_f32_16x16x16_bf16 v[68:71], a[182:183], a[126:127], v[68:71]// 000000005E68: D3E10044 1D12FDB6
	v_mfma_f32_16x16x16_bf16 v[72:75], a[176:177], a[128:129], v[72:75]// 000000005E70: D3E10048 1D2301B0
	v_mfma_f32_16x16x16_bf16 v[72:75], a[178:179], a[130:131], v[72:75]// 000000005E78: D3E10048 1D2305B2
	v_mfma_f32_16x16x16_bf16 v[72:75], a[180:181], a[132:133], v[72:75]// 000000005E80: D3E10048 1D2309B4
	v_mfma_f32_16x16x16_bf16 v[72:75], a[182:183], a[134:135], v[72:75]// 000000005E88: D3E10048 1D230DB6
	v_mfma_f32_16x16x16_bf16 v[76:79], a[176:177], a[136:137], v[76:79]// 000000005E90: D3E1004C 1D3311B0
	v_mfma_f32_16x16x16_bf16 v[76:79], a[178:179], a[138:139], v[76:79]// 000000005E98: D3E1004C 1D3315B2
	v_mfma_f32_16x16x16_bf16 v[76:79], a[180:181], a[140:141], v[76:79]// 000000005EA0: D3E1004C 1D3319B4
	v_mfma_f32_16x16x16_bf16 v[76:79], a[182:183], a[142:143], v[76:79]// 000000005EA8: D3E1004C 1D331DB6
	v_mfma_f32_16x16x16_bf16 v[80:83], a[176:177], a[144:145], v[80:83]// 000000005EB0: D3E10050 1D4321B0
	v_mfma_f32_16x16x16_bf16 v[80:83], a[178:179], a[146:147], v[80:83]// 000000005EB8: D3E10050 1D4325B2
	v_mfma_f32_16x16x16_bf16 v[80:83], a[180:181], a[148:149], v[80:83]// 000000005EC0: D3E10050 1D4329B4
	v_mfma_f32_16x16x16_bf16 v[80:83], a[182:183], a[150:151], v[80:83]// 000000005EC8: D3E10050 1D432DB6
	v_mfma_f32_16x16x16_bf16 v[84:87], a[176:177], a[152:153], v[84:87]// 000000005ED0: D3E10054 1D5331B0
	v_mfma_f32_16x16x16_bf16 v[84:87], a[178:179], a[154:155], v[84:87]// 000000005ED8: D3E10054 1D5335B2
	v_mfma_f32_16x16x16_bf16 v[84:87], a[180:181], a[156:157], v[84:87]// 000000005EE0: D3E10054 1D5339B4
	v_mfma_f32_16x16x16_bf16 v[84:87], a[182:183], a[158:159], v[84:87]// 000000005EE8: D3E10054 1D533DB6
	s_addk_i32 s33, 0x40                                       // 000000005EF0: B7210040
	s_cmp_lt_i32 s33, s34                                      // 000000005EF4: BF042221
	s_cbranch_scc0 label_0D80                                  // 000000005EF8: BF840001
	s_branch label_0857                                        // 000000005EFC: BF82FAD7

0000000000005f00 <label_0D80>:
	s_cmp_le_u32 s48, 1                                        // 000000005F00: BF0B8130
	s_cbranch_scc1 label_1528                                  // 000000005F04: BF8507A6
	s_mov_b32 s31, 0xa0                                        // 000000005F08: BE9F00FF 000000A0
	s_cmp_lt_u32 s51, s31                                      // 000000005F10: BF0A1F33
	s_cbranch_scc1 label_106B                                  // 000000005F14: BF8502E5
	v_mov_b32_e32 v5, 0                                        // 000000005F18: 7E0A0280
	s_and_b32 s17, s17, 0xffff                                 // 000000005F1C: 8611FF11 0000FFFF
	s_cmp_lt_u32 s50, 1                                        // 000000005F24: BF0A8132
	s_cbranch_scc0 label_0EAA                                  // 000000005F28: BF84011F
	v_lshrrev_b32_e32 v4, 4, v0                                // 000000005F2C: 20080084
	v_mul_u32_u24_e32 v43, 0x44, v4                            // 000000005F30: 105608FF 00000044
	v_and_b32_e32 v4, 15, v0                                   // 000000005F38: 2608008F
	v_mul_lo_u32 v5, 4, v4                                     // 000000005F3C: D2850005 00020884
	v_add_u32_e32 v43, v5, v43                                 // 000000005F44: 68565705
	s_mul_i32 s31, s24, 0x110                                  // 000000005F48: 921FFF18 00000110
	v_add_u32_e32 v43, s31, v43                                // 000000005F50: 6856561F
	v_lshlrev_b32_e32 v43, 2, v43                              // 000000005F54: 24565682
	v_lshrrev_b32_e32 v4, 2, v0                                // 000000005F58: 20080082
	v_mul_u32_u24_e32 v46, 0x44, v4                            // 000000005F5C: 105C08FF 00000044
	v_and_b32_e32 v4, 3, v0                                    // 000000005F64: 26080083
	v_add_u32_e32 v46, v4, v46                                 // 000000005F68: 685C5D04
	s_mul_i32 s31, s24, 4                                      // 000000005F6C: 921F8418
	v_add_u32_e32 v46, s31, v46                                // 000000005F70: 685C5C1F
	v_lshlrev_b32_e32 v46, 2, v46                              // 000000005F74: 245C5C82
	s_waitcnt vmcnt(0) expcnt(0) lgkmcnt(0)                    // 000000005F78: BF8C0000
	s_barrier                                                  // 000000005F7C: BF8A0000
	ds_write_b128 v43, v[48:51]                                // 000000005F80: D9BE0000 0000302B
	ds_write_b128 v43, v[52:55] offset:4352                    // 000000005F88: D9BE1100 0000342B
	ds_write_b128 v43, v[56:59] offset:8704                    // 000000005F90: D9BE2200 0000382B
	ds_write_b128 v43, v[60:63] offset:13056                   // 000000005F98: D9BE3300 00003C2B
	ds_write_b128 v43, v[64:67] offset:17408                   // 000000005FA0: D9BE4400 0000402B
	ds_write_b128 v43, v[68:71] offset:21760                   // 000000005FA8: D9BE5500 0000442B
	ds_write_b128 v43, v[72:75] offset:26112                   // 000000005FB0: D9BE6600 0000482B
	ds_write_b128 v43, v[76:79] offset:30464                   // 000000005FB8: D9BE7700 00004C2B
	ds_write_b128 v43, v[80:83] offset:34816                   // 000000005FC0: D9BE8800 0000502B
	ds_write_b128 v43, v[84:87] offset:39168                   // 000000005FC8: D9BE9900 0000542B
	s_waitcnt lgkmcnt(0)                                       // 000000005FD0: BF8CC07F
	s_barrier                                                  // 000000005FD4: BF8A0000
	ds_read_b32 v48, v46                                       // 000000005FD8: D86C0000 3000002E
	ds_read_b32 v49, v46 offset:64                             // 000000005FE0: D86C0040 3100002E
	ds_read_b32 v50, v46 offset:128                            // 000000005FE8: D86C0080 3200002E
	ds_read_b32 v51, v46 offset:192                            // 000000005FF0: D86C00C0 3300002E
	ds_read_b32 v52, v46 offset:4352                           // 000000005FF8: D86C1100 3400002E
	ds_read_b32 v53, v46 offset:4416                           // 000000006000: D86C1140 3500002E
	ds_read_b32 v54, v46 offset:4480                           // 000000006008: D86C1180 3600002E
	ds_read_b32 v55, v46 offset:4544                           // 000000006010: D86C11C0 3700002E
	ds_read_b32 v56, v46 offset:8704                           // 000000006018: D86C2200 3800002E
	ds_read_b32 v57, v46 offset:8768                           // 000000006020: D86C2240 3900002E
	ds_read_b32 v58, v46 offset:8832                           // 000000006028: D86C2280 3A00002E
	ds_read_b32 v59, v46 offset:8896                           // 000000006030: D86C22C0 3B00002E
	ds_read_b32 v60, v46 offset:13056                          // 000000006038: D86C3300 3C00002E
	ds_read_b32 v61, v46 offset:13120                          // 000000006040: D86C3340 3D00002E
	ds_read_b32 v62, v46 offset:13184                          // 000000006048: D86C3380 3E00002E
	ds_read_b32 v63, v46 offset:13248                          // 000000006050: D86C33C0 3F00002E
	ds_read_b32 v64, v46 offset:17408                          // 000000006058: D86C4400 4000002E
	ds_read_b32 v65, v46 offset:17472                          // 000000006060: D86C4440 4100002E
	ds_read_b32 v66, v46 offset:17536                          // 000000006068: D86C4480 4200002E
	ds_read_b32 v67, v46 offset:17600                          // 000000006070: D86C44C0 4300002E
	ds_read_b32 v68, v46 offset:21760                          // 000000006078: D86C5500 4400002E
	ds_read_b32 v69, v46 offset:21824                          // 000000006080: D86C5540 4500002E
	ds_read_b32 v70, v46 offset:21888                          // 000000006088: D86C5580 4600002E
	ds_read_b32 v71, v46 offset:21952                          // 000000006090: D86C55C0 4700002E
	ds_read_b32 v72, v46 offset:26112                          // 000000006098: D86C6600 4800002E
	ds_read_b32 v73, v46 offset:26176                          // 0000000060A0: D86C6640 4900002E
	ds_read_b32 v74, v46 offset:26240                          // 0000000060A8: D86C6680 4A00002E
	ds_read_b32 v75, v46 offset:26304                          // 0000000060B0: D86C66C0 4B00002E
	ds_read_b32 v76, v46 offset:30464                          // 0000000060B8: D86C7700 4C00002E
	ds_read_b32 v77, v46 offset:30528                          // 0000000060C0: D86C7740 4D00002E
	ds_read_b32 v78, v46 offset:30592                          // 0000000060C8: D86C7780 4E00002E
	ds_read_b32 v79, v46 offset:30656                          // 0000000060D0: D86C77C0 4F00002E
	ds_read_b32 v80, v46 offset:34816                          // 0000000060D8: D86C8800 5000002E
	ds_read_b32 v81, v46 offset:34880                          // 0000000060E0: D86C8840 5100002E
	ds_read_b32 v82, v46 offset:34944                          // 0000000060E8: D86C8880 5200002E
	ds_read_b32 v83, v46 offset:35008                          // 0000000060F0: D86C88C0 5300002E
	ds_read_b32 v84, v46 offset:39168                          // 0000000060F8: D86C9900 5400002E
	ds_read_b32 v85, v46 offset:39232                          // 000000006100: D86C9940 5500002E
	ds_read_b32 v86, v46 offset:39296                          // 000000006108: D86C9980 5600002E
	ds_read_b32 v87, v46 offset:39360                          // 000000006110: D86C99C0 5700002E
	s_waitcnt lgkmcnt(0)                                       // 000000006118: BF8CC07F
	s_mul_i32 s31, s30, 4                                      // 00000000611C: 921F841E
	v_mov_b32_e32 v4, v22                                      // 000000006120: 7E080316
	global_atomic_add_f32 v4, v48, s[16:17]                    // 000000006124: DD348000 00103004
	v_add_u32_e64 v4, v4, s31                                  // 00000000612C: D1340004 00003F04
	global_atomic_add_f32 v4, v49, s[16:17]                    // 000000006134: DD348000 00103104
	v_add_u32_e64 v4, v4, s31                                  // 00000000613C: D1340004 00003F04
	global_atomic_add_f32 v4, v50, s[16:17]                    // 000000006144: DD348000 00103204
	v_add_u32_e64 v4, v4, s31                                  // 00000000614C: D1340004 00003F04
	global_atomic_add_f32 v4, v51, s[16:17]                    // 000000006154: DD348000 00103304
	v_add_u32_e64 v4, v4, s31                                  // 00000000615C: D1340004 00003F04
	global_atomic_add_f32 v4, v52, s[16:17]                    // 000000006164: DD348000 00103404
	v_add_u32_e64 v4, v4, s31                                  // 00000000616C: D1340004 00003F04
	global_atomic_add_f32 v4, v53, s[16:17]                    // 000000006174: DD348000 00103504
	v_add_u32_e64 v4, v4, s31                                  // 00000000617C: D1340004 00003F04
	global_atomic_add_f32 v4, v54, s[16:17]                    // 000000006184: DD348000 00103604
	v_add_u32_e64 v4, v4, s31                                  // 00000000618C: D1340004 00003F04
	global_atomic_add_f32 v4, v55, s[16:17]                    // 000000006194: DD348000 00103704
	v_add_u32_e64 v4, v4, s31                                  // 00000000619C: D1340004 00003F04
	global_atomic_add_f32 v4, v56, s[16:17]                    // 0000000061A4: DD348000 00103804
	v_add_u32_e64 v4, v4, s31                                  // 0000000061AC: D1340004 00003F04
	global_atomic_add_f32 v4, v57, s[16:17]                    // 0000000061B4: DD348000 00103904
	v_add_u32_e64 v4, v4, s31                                  // 0000000061BC: D1340004 00003F04
	global_atomic_add_f32 v4, v58, s[16:17]                    // 0000000061C4: DD348000 00103A04
	v_add_u32_e64 v4, v4, s31                                  // 0000000061CC: D1340004 00003F04
	global_atomic_add_f32 v4, v59, s[16:17]                    // 0000000061D4: DD348000 00103B04
	v_add_u32_e64 v4, v4, s31                                  // 0000000061DC: D1340004 00003F04
	global_atomic_add_f32 v4, v60, s[16:17]                    // 0000000061E4: DD348000 00103C04
	v_add_u32_e64 v4, v4, s31                                  // 0000000061EC: D1340004 00003F04
	global_atomic_add_f32 v4, v61, s[16:17]                    // 0000000061F4: DD348000 00103D04
	v_add_u32_e64 v4, v4, s31                                  // 0000000061FC: D1340004 00003F04
	global_atomic_add_f32 v4, v62, s[16:17]                    // 000000006204: DD348000 00103E04
	v_add_u32_e64 v4, v4, s31                                  // 00000000620C: D1340004 00003F04
	global_atomic_add_f32 v4, v63, s[16:17]                    // 000000006214: DD348000 00103F04
	v_add_u32_e64 v4, v4, s31                                  // 00000000621C: D1340004 00003F04
	global_atomic_add_f32 v4, v64, s[16:17]                    // 000000006224: DD348000 00104004
	v_add_u32_e64 v4, v4, s31                                  // 00000000622C: D1340004 00003F04
	global_atomic_add_f32 v4, v65, s[16:17]                    // 000000006234: DD348000 00104104
	v_add_u32_e64 v4, v4, s31                                  // 00000000623C: D1340004 00003F04
	global_atomic_add_f32 v4, v66, s[16:17]                    // 000000006244: DD348000 00104204
	v_add_u32_e64 v4, v4, s31                                  // 00000000624C: D1340004 00003F04
	global_atomic_add_f32 v4, v67, s[16:17]                    // 000000006254: DD348000 00104304
	v_add_u32_e64 v4, v4, s31                                  // 00000000625C: D1340004 00003F04
	global_atomic_add_f32 v4, v68, s[16:17]                    // 000000006264: DD348000 00104404
	v_add_u32_e64 v4, v4, s31                                  // 00000000626C: D1340004 00003F04
	global_atomic_add_f32 v4, v69, s[16:17]                    // 000000006274: DD348000 00104504
	v_add_u32_e64 v4, v4, s31                                  // 00000000627C: D1340004 00003F04
	global_atomic_add_f32 v4, v70, s[16:17]                    // 000000006284: DD348000 00104604
	v_add_u32_e64 v4, v4, s31                                  // 00000000628C: D1340004 00003F04
	global_atomic_add_f32 v4, v71, s[16:17]                    // 000000006294: DD348000 00104704
	v_add_u32_e64 v4, v4, s31                                  // 00000000629C: D1340004 00003F04
	global_atomic_add_f32 v4, v72, s[16:17]                    // 0000000062A4: DD348000 00104804
	v_add_u32_e64 v4, v4, s31                                  // 0000000062AC: D1340004 00003F04
	global_atomic_add_f32 v4, v73, s[16:17]                    // 0000000062B4: DD348000 00104904
	v_add_u32_e64 v4, v4, s31                                  // 0000000062BC: D1340004 00003F04
	global_atomic_add_f32 v4, v74, s[16:17]                    // 0000000062C4: DD348000 00104A04
	v_add_u32_e64 v4, v4, s31                                  // 0000000062CC: D1340004 00003F04
	global_atomic_add_f32 v4, v75, s[16:17]                    // 0000000062D4: DD348000 00104B04
	v_add_u32_e64 v4, v4, s31                                  // 0000000062DC: D1340004 00003F04
	global_atomic_add_f32 v4, v76, s[16:17]                    // 0000000062E4: DD348000 00104C04
	v_add_u32_e64 v4, v4, s31                                  // 0000000062EC: D1340004 00003F04
	global_atomic_add_f32 v4, v77, s[16:17]                    // 0000000062F4: DD348000 00104D04
	v_add_u32_e64 v4, v4, s31                                  // 0000000062FC: D1340004 00003F04
	global_atomic_add_f32 v4, v78, s[16:17]                    // 000000006304: DD348000 00104E04
	v_add_u32_e64 v4, v4, s31                                  // 00000000630C: D1340004 00003F04
	global_atomic_add_f32 v4, v79, s[16:17]                    // 000000006314: DD348000 00104F04
	v_add_u32_e64 v4, v4, s31                                  // 00000000631C: D1340004 00003F04
	global_atomic_add_f32 v4, v80, s[16:17]                    // 000000006324: DD348000 00105004
	v_add_u32_e64 v4, v4, s31                                  // 00000000632C: D1340004 00003F04
	global_atomic_add_f32 v4, v81, s[16:17]                    // 000000006334: DD348000 00105104
	v_add_u32_e64 v4, v4, s31                                  // 00000000633C: D1340004 00003F04
	global_atomic_add_f32 v4, v82, s[16:17]                    // 000000006344: DD348000 00105204
	v_add_u32_e64 v4, v4, s31                                  // 00000000634C: D1340004 00003F04
	global_atomic_add_f32 v4, v83, s[16:17]                    // 000000006354: DD348000 00105304
	v_add_u32_e64 v4, v4, s31                                  // 00000000635C: D1340004 00003F04
	global_atomic_add_f32 v4, v84, s[16:17]                    // 000000006364: DD348000 00105404
	v_add_u32_e64 v4, v4, s31                                  // 00000000636C: D1340004 00003F04
	global_atomic_add_f32 v4, v85, s[16:17]                    // 000000006374: DD348000 00105504
	v_add_u32_e64 v4, v4, s31                                  // 00000000637C: D1340004 00003F04
	global_atomic_add_f32 v4, v86, s[16:17]                    // 000000006384: DD348000 00105604
	v_add_u32_e64 v4, v4, s31                                  // 00000000638C: D1340004 00003F04
	global_atomic_add_f32 v4, v87, s[16:17]                    // 000000006394: DD348000 00105704
	v_add_u32_e64 v4, v4, s31                                  // 00000000639C: D1340004 00003F04
	s_branch label_166B                                        // 0000000063A4: BF8207C1

00000000000063a8 <label_0EAA>:
	v_lshrrev_b32_e32 v4, 4, v0                                // 0000000063A8: 20080084
	v_mul_u32_u24_e32 v43, 34, v4                              // 0000000063AC: 105608A2
	v_and_b32_e32 v4, 15, v0                                   // 0000000063B0: 2608008F
	v_mul_lo_u32 v5, 2, v4                                     // 0000000063B4: D2850005 00020882
	v_add_u32_e32 v43, v5, v43                                 // 0000000063BC: 68565705
	s_mul_i32 s31, s24, 0x88                                   // 0000000063C0: 921FFF18 00000088
	v_add_u32_e32 v43, s31, v43                                // 0000000063C8: 6856561F
	v_lshlrev_b32_e32 v43, 2, v43                              // 0000000063CC: 24565682
	v_and_b32_e32 v4, 31, v0                                   // 0000000063D0: 2608009F
	v_lshrrev_b32_e32 v5, 1, v4                                // 0000000063D4: 200A0881
	v_mul_u32_u24_e32 v46, 34, v5                              // 0000000063D8: 105C0AA2
	v_and_b32_e32 v5, 1, v4                                    // 0000000063DC: 260A0881
	v_add_u32_e32 v46, v5, v46                                 // 0000000063E0: 685C5D05
	v_lshrrev_b32_e32 v4, 5, v0                                // 0000000063E4: 20080085
	v_mul_u32_u24_e32 v4, 8, v4                                // 0000000063E8: 10080888
	v_add_u32_e32 v46, v4, v46                                 // 0000000063EC: 685C5D04
	s_mul_i32 s31, s24, 2                                      // 0000000063F0: 921F8218
	v_add_u32_e32 v46, s31, v46                                // 0000000063F4: 685C5C1F
	v_lshlrev_b32_e32 v46, 2, v46                              // 0000000063F8: 245C5C82
	s_waitcnt vmcnt(0) expcnt(0) lgkmcnt(0)                    // 0000000063FC: BF8C0000
	s_barrier                                                  // 000000006400: BF8A0000
	v_cmp_u_f32_e64 s[56:57], v48, v48                         // 000000006404: D0480038 00026130
	v_add3_u32 v8, v48, v11, 1                                 // 00000000640C: D1FF0008 02061730
	v_cndmask_b32_e64 v4, v8, v10, s[56:57]                    // 000000006414: D1000004 00E21508
	v_cmp_u_f32_e64 s[56:57], v49, v49                         // 00000000641C: D0480038 00026331
	v_add3_u32 v8, v49, v11, 1                                 // 000000006424: D1FF0008 02061731
	v_cndmask_b32_e64 v5, v8, v10, s[56:57]                    // 00000000642C: D1000005 00E21508
	v_perm_b32 v88, v5, v4, s35                                // 000000006434: D1ED0058 008E0905
	v_cmp_u_f32_e64 s[56:57], v50, v50                         // 00000000643C: D0480038 00026532
	v_add3_u32 v8, v50, v11, 1                                 // 000000006444: D1FF0008 02061732
	v_cndmask_b32_e64 v4, v8, v10, s[56:57]                    // 00000000644C: D1000004 00E21508
	v_cmp_u_f32_e64 s[56:57], v51, v51                         // 000000006454: D0480038 00026733
	v_add3_u32 v8, v51, v11, 1                                 // 00000000645C: D1FF0008 02061733
	v_cndmask_b32_e64 v5, v8, v10, s[56:57]                    // 000000006464: D1000005 00E21508
	v_perm_b32 v89, v5, v4, s35                                // 00000000646C: D1ED0059 008E0905
	v_cmp_u_f32_e64 s[56:57], v52, v52                         // 000000006474: D0480038 00026934
	v_add3_u32 v8, v52, v11, 1                                 // 00000000647C: D1FF0008 02061734
	v_cndmask_b32_e64 v4, v8, v10, s[56:57]                    // 000000006484: D1000004 00E21508
	v_cmp_u_f32_e64 s[56:57], v53, v53                         // 00000000648C: D0480038 00026B35
	v_add3_u32 v8, v53, v11, 1                                 // 000000006494: D1FF0008 02061735
	v_cndmask_b32_e64 v5, v8, v10, s[56:57]                    // 00000000649C: D1000005 00E21508
	v_perm_b32 v90, v5, v4, s35                                // 0000000064A4: D1ED005A 008E0905
	v_cmp_u_f32_e64 s[56:57], v54, v54                         // 0000000064AC: D0480038 00026D36
	v_add3_u32 v8, v54, v11, 1                                 // 0000000064B4: D1FF0008 02061736
	v_cndmask_b32_e64 v4, v8, v10, s[56:57]                    // 0000000064BC: D1000004 00E21508
	v_cmp_u_f32_e64 s[56:57], v55, v55                         // 0000000064C4: D0480038 00026F37
	v_add3_u32 v8, v55, v11, 1                                 // 0000000064CC: D1FF0008 02061737
	v_cndmask_b32_e64 v5, v8, v10, s[56:57]                    // 0000000064D4: D1000005 00E21508
	v_perm_b32 v91, v5, v4, s35                                // 0000000064DC: D1ED005B 008E0905
	v_cmp_u_f32_e64 s[56:57], v56, v56                         // 0000000064E4: D0480038 00027138
	v_add3_u32 v8, v56, v11, 1                                 // 0000000064EC: D1FF0008 02061738
	v_cndmask_b32_e64 v4, v8, v10, s[56:57]                    // 0000000064F4: D1000004 00E21508
	v_cmp_u_f32_e64 s[56:57], v57, v57                         // 0000000064FC: D0480038 00027339
	v_add3_u32 v8, v57, v11, 1                                 // 000000006504: D1FF0008 02061739
	v_cndmask_b32_e64 v5, v8, v10, s[56:57]                    // 00000000650C: D1000005 00E21508
	v_perm_b32 v92, v5, v4, s35                                // 000000006514: D1ED005C 008E0905
	v_cmp_u_f32_e64 s[56:57], v58, v58                         // 00000000651C: D0480038 0002753A
	v_add3_u32 v8, v58, v11, 1                                 // 000000006524: D1FF0008 0206173A
	v_cndmask_b32_e64 v4, v8, v10, s[56:57]                    // 00000000652C: D1000004 00E21508
	v_cmp_u_f32_e64 s[56:57], v59, v59                         // 000000006534: D0480038 0002773B
	v_add3_u32 v8, v59, v11, 1                                 // 00000000653C: D1FF0008 0206173B
	v_cndmask_b32_e64 v5, v8, v10, s[56:57]                    // 000000006544: D1000005 00E21508
	v_perm_b32 v93, v5, v4, s35                                // 00000000654C: D1ED005D 008E0905
	v_cmp_u_f32_e64 s[56:57], v60, v60                         // 000000006554: D0480038 0002793C
	v_add3_u32 v8, v60, v11, 1                                 // 00000000655C: D1FF0008 0206173C
	v_cndmask_b32_e64 v4, v8, v10, s[56:57]                    // 000000006564: D1000004 00E21508
	v_cmp_u_f32_e64 s[56:57], v61, v61                         // 00000000656C: D0480038 00027B3D
	v_add3_u32 v8, v61, v11, 1                                 // 000000006574: D1FF0008 0206173D
	v_cndmask_b32_e64 v5, v8, v10, s[56:57]                    // 00000000657C: D1000005 00E21508
	v_perm_b32 v94, v5, v4, s35                                // 000000006584: D1ED005E 008E0905
	v_cmp_u_f32_e64 s[56:57], v62, v62                         // 00000000658C: D0480038 00027D3E
	v_add3_u32 v8, v62, v11, 1                                 // 000000006594: D1FF0008 0206173E
	v_cndmask_b32_e64 v4, v8, v10, s[56:57]                    // 00000000659C: D1000004 00E21508
	v_cmp_u_f32_e64 s[56:57], v63, v63                         // 0000000065A4: D0480038 00027F3F
	v_add3_u32 v8, v63, v11, 1                                 // 0000000065AC: D1FF0008 0206173F
	v_cndmask_b32_e64 v5, v8, v10, s[56:57]                    // 0000000065B4: D1000005 00E21508
	v_perm_b32 v95, v5, v4, s35                                // 0000000065BC: D1ED005F 008E0905
	v_cmp_u_f32_e64 s[56:57], v64, v64                         // 0000000065C4: D0480038 00028140
	v_add3_u32 v8, v64, v11, 1                                 // 0000000065CC: D1FF0008 02061740
	v_cndmask_b32_e64 v4, v8, v10, s[56:57]                    // 0000000065D4: D1000004 00E21508
	v_cmp_u_f32_e64 s[56:57], v65, v65                         // 0000000065DC: D0480038 00028341
	v_add3_u32 v8, v65, v11, 1                                 // 0000000065E4: D1FF0008 02061741
	v_cndmask_b32_e64 v5, v8, v10, s[56:57]                    // 0000000065EC: D1000005 00E21508
	v_perm_b32 v96, v5, v4, s35                                // 0000000065F4: D1ED0060 008E0905
	v_cmp_u_f32_e64 s[56:57], v66, v66                         // 0000000065FC: D0480038 00028542
	v_add3_u32 v8, v66, v11, 1                                 // 000000006604: D1FF0008 02061742
	v_cndmask_b32_e64 v4, v8, v10, s[56:57]                    // 00000000660C: D1000004 00E21508
	v_cmp_u_f32_e64 s[56:57], v67, v67                         // 000000006614: D0480038 00028743
	v_add3_u32 v8, v67, v11, 1                                 // 00000000661C: D1FF0008 02061743
	v_cndmask_b32_e64 v5, v8, v10, s[56:57]                    // 000000006624: D1000005 00E21508
	v_perm_b32 v97, v5, v4, s35                                // 00000000662C: D1ED0061 008E0905
	v_cmp_u_f32_e64 s[56:57], v68, v68                         // 000000006634: D0480038 00028944
	v_add3_u32 v8, v68, v11, 1                                 // 00000000663C: D1FF0008 02061744
	v_cndmask_b32_e64 v4, v8, v10, s[56:57]                    // 000000006644: D1000004 00E21508
	v_cmp_u_f32_e64 s[56:57], v69, v69                         // 00000000664C: D0480038 00028B45
	v_add3_u32 v8, v69, v11, 1                                 // 000000006654: D1FF0008 02061745
	v_cndmask_b32_e64 v5, v8, v10, s[56:57]                    // 00000000665C: D1000005 00E21508
	v_perm_b32 v98, v5, v4, s35                                // 000000006664: D1ED0062 008E0905
	v_cmp_u_f32_e64 s[56:57], v70, v70                         // 00000000666C: D0480038 00028D46
	v_add3_u32 v8, v70, v11, 1                                 // 000000006674: D1FF0008 02061746
	v_cndmask_b32_e64 v4, v8, v10, s[56:57]                    // 00000000667C: D1000004 00E21508
	v_cmp_u_f32_e64 s[56:57], v71, v71                         // 000000006684: D0480038 00028F47
	v_add3_u32 v8, v71, v11, 1                                 // 00000000668C: D1FF0008 02061747
	v_cndmask_b32_e64 v5, v8, v10, s[56:57]                    // 000000006694: D1000005 00E21508
	v_perm_b32 v99, v5, v4, s35                                // 00000000669C: D1ED0063 008E0905
	v_cmp_u_f32_e64 s[56:57], v72, v72                         // 0000000066A4: D0480038 00029148
	v_add3_u32 v8, v72, v11, 1                                 // 0000000066AC: D1FF0008 02061748
	v_cndmask_b32_e64 v4, v8, v10, s[56:57]                    // 0000000066B4: D1000004 00E21508
	v_cmp_u_f32_e64 s[56:57], v73, v73                         // 0000000066BC: D0480038 00029349
	v_add3_u32 v8, v73, v11, 1                                 // 0000000066C4: D1FF0008 02061749
	v_cndmask_b32_e64 v5, v8, v10, s[56:57]                    // 0000000066CC: D1000005 00E21508
	v_perm_b32 v100, v5, v4, s35                               // 0000000066D4: D1ED0064 008E0905
	v_cmp_u_f32_e64 s[56:57], v74, v74                         // 0000000066DC: D0480038 0002954A
	v_add3_u32 v8, v74, v11, 1                                 // 0000000066E4: D1FF0008 0206174A
	v_cndmask_b32_e64 v4, v8, v10, s[56:57]                    // 0000000066EC: D1000004 00E21508
	v_cmp_u_f32_e64 s[56:57], v75, v75                         // 0000000066F4: D0480038 0002974B
	v_add3_u32 v8, v75, v11, 1                                 // 0000000066FC: D1FF0008 0206174B
	v_cndmask_b32_e64 v5, v8, v10, s[56:57]                    // 000000006704: D1000005 00E21508
	v_perm_b32 v101, v5, v4, s35                               // 00000000670C: D1ED0065 008E0905
	v_cmp_u_f32_e64 s[56:57], v76, v76                         // 000000006714: D0480038 0002994C
	v_add3_u32 v8, v76, v11, 1                                 // 00000000671C: D1FF0008 0206174C
	v_cndmask_b32_e64 v4, v8, v10, s[56:57]                    // 000000006724: D1000004 00E21508
	v_cmp_u_f32_e64 s[56:57], v77, v77                         // 00000000672C: D0480038 00029B4D
	v_add3_u32 v8, v77, v11, 1                                 // 000000006734: D1FF0008 0206174D
	v_cndmask_b32_e64 v5, v8, v10, s[56:57]                    // 00000000673C: D1000005 00E21508
	v_perm_b32 v102, v5, v4, s35                               // 000000006744: D1ED0066 008E0905
	v_cmp_u_f32_e64 s[56:57], v78, v78                         // 00000000674C: D0480038 00029D4E
	v_add3_u32 v8, v78, v11, 1                                 // 000000006754: D1FF0008 0206174E
	v_cndmask_b32_e64 v4, v8, v10, s[56:57]                    // 00000000675C: D1000004 00E21508
	v_cmp_u_f32_e64 s[56:57], v79, v79                         // 000000006764: D0480038 00029F4F
	v_add3_u32 v8, v79, v11, 1                                 // 00000000676C: D1FF0008 0206174F
	v_cndmask_b32_e64 v5, v8, v10, s[56:57]                    // 000000006774: D1000005 00E21508
	v_perm_b32 v103, v5, v4, s35                               // 00000000677C: D1ED0067 008E0905
	v_cmp_u_f32_e64 s[56:57], v80, v80                         // 000000006784: D0480038 0002A150
	v_add3_u32 v8, v80, v11, 1                                 // 00000000678C: D1FF0008 02061750
	v_cndmask_b32_e64 v4, v8, v10, s[56:57]                    // 000000006794: D1000004 00E21508
	v_cmp_u_f32_e64 s[56:57], v81, v81                         // 00000000679C: D0480038 0002A351
	v_add3_u32 v8, v81, v11, 1                                 // 0000000067A4: D1FF0008 02061751
	v_cndmask_b32_e64 v5, v8, v10, s[56:57]                    // 0000000067AC: D1000005 00E21508
	v_perm_b32 v104, v5, v4, s35                               // 0000000067B4: D1ED0068 008E0905
	v_cmp_u_f32_e64 s[56:57], v82, v82                         // 0000000067BC: D0480038 0002A552
	v_add3_u32 v8, v82, v11, 1                                 // 0000000067C4: D1FF0008 02061752
	v_cndmask_b32_e64 v4, v8, v10, s[56:57]                    // 0000000067CC: D1000004 00E21508
	v_cmp_u_f32_e64 s[56:57], v83, v83                         // 0000000067D4: D0480038 0002A753
	v_add3_u32 v8, v83, v11, 1                                 // 0000000067DC: D1FF0008 02061753
	v_cndmask_b32_e64 v5, v8, v10, s[56:57]                    // 0000000067E4: D1000005 00E21508
	v_perm_b32 v105, v5, v4, s35                               // 0000000067EC: D1ED0069 008E0905
	v_cmp_u_f32_e64 s[56:57], v84, v84                         // 0000000067F4: D0480038 0002A954
	v_add3_u32 v8, v84, v11, 1                                 // 0000000067FC: D1FF0008 02061754
	v_cndmask_b32_e64 v4, v8, v10, s[56:57]                    // 000000006804: D1000004 00E21508
	v_cmp_u_f32_e64 s[56:57], v85, v85                         // 00000000680C: D0480038 0002AB55
	v_add3_u32 v8, v85, v11, 1                                 // 000000006814: D1FF0008 02061755
	v_cndmask_b32_e64 v5, v8, v10, s[56:57]                    // 00000000681C: D1000005 00E21508
	v_perm_b32 v106, v5, v4, s35                               // 000000006824: D1ED006A 008E0905
	v_cmp_u_f32_e64 s[56:57], v86, v86                         // 00000000682C: D0480038 0002AD56
	v_add3_u32 v8, v86, v11, 1                                 // 000000006834: D1FF0008 02061756
	v_cndmask_b32_e64 v4, v8, v10, s[56:57]                    // 00000000683C: D1000004 00E21508
	v_cmp_u_f32_e64 s[56:57], v87, v87                         // 000000006844: D0480038 0002AF57
	v_add3_u32 v8, v87, v11, 1                                 // 00000000684C: D1FF0008 02061757
	v_cndmask_b32_e64 v5, v8, v10, s[56:57]                    // 000000006854: D1000005 00E21508
	v_perm_b32 v107, v5, v4, s35                               // 00000000685C: D1ED006B 008E0905
	ds_write_b64 v43, v[88:89]                                 // 000000006864: D89A0000 0000582B
	ds_write_b64 v43, v[90:91] offset:2176                     // 00000000686C: D89A0880 00005A2B
	ds_write_b64 v43, v[92:93] offset:4352                     // 000000006874: D89A1100 00005C2B
	ds_write_b64 v43, v[94:95] offset:6528                     // 00000000687C: D89A1980 00005E2B
	ds_write_b64 v43, v[96:97] offset:8704                     // 000000006884: D89A2200 0000602B
	ds_write_b64 v43, v[98:99] offset:10880                    // 00000000688C: D89A2A80 0000622B
	ds_write_b64 v43, v[100:101] offset:13056                  // 000000006894: D89A3300 0000642B
	ds_write_b64 v43, v[102:103] offset:15232                  // 00000000689C: D89A3B80 0000662B
	ds_write_b64 v43, v[104:105] offset:17408                  // 0000000068A4: D89A4400 0000682B
	ds_write_b64 v43, v[106:107] offset:19584                  // 0000000068AC: D89A4C80 00006A2B
	s_waitcnt lgkmcnt(0)                                       // 0000000068B4: BF8CC07F
	s_barrier                                                  // 0000000068B8: BF8A0000
	ds_read_b32 v88, v46                                       // 0000000068BC: D86C0000 5800002E
	ds_read_b32 v89, v46 offset:64                             // 0000000068C4: D86C0040 5900002E
	ds_read_b32 v90, v46 offset:2176                           // 0000000068CC: D86C0880 5A00002E
	ds_read_b32 v91, v46 offset:2240                           // 0000000068D4: D86C08C0 5B00002E
	ds_read_b32 v92, v46 offset:4352                           // 0000000068DC: D86C1100 5C00002E
	ds_read_b32 v93, v46 offset:4416                           // 0000000068E4: D86C1140 5D00002E
	ds_read_b32 v94, v46 offset:6528                           // 0000000068EC: D86C1980 5E00002E
	ds_read_b32 v95, v46 offset:6592                           // 0000000068F4: D86C19C0 5F00002E
	ds_read_b32 v96, v46 offset:8704                           // 0000000068FC: D86C2200 6000002E
	ds_read_b32 v97, v46 offset:8768                           // 000000006904: D86C2240 6100002E
	ds_read_b32 v98, v46 offset:10880                          // 00000000690C: D86C2A80 6200002E
	ds_read_b32 v99, v46 offset:10944                          // 000000006914: D86C2AC0 6300002E
	ds_read_b32 v100, v46 offset:13056                         // 00000000691C: D86C3300 6400002E
	ds_read_b32 v101, v46 offset:13120                         // 000000006924: D86C3340 6500002E
	ds_read_b32 v102, v46 offset:15232                         // 00000000692C: D86C3B80 6600002E
	ds_read_b32 v103, v46 offset:15296                         // 000000006934: D86C3BC0 6700002E
	ds_read_b32 v104, v46 offset:17408                         // 00000000693C: D86C4400 6800002E
	ds_read_b32 v105, v46 offset:17472                         // 000000006944: D86C4440 6900002E
	ds_read_b32 v106, v46 offset:19584                         // 00000000694C: D86C4C80 6A00002E
	ds_read_b32 v107, v46 offset:19648                         // 000000006954: D86C4CC0 6B00002E
	s_waitcnt lgkmcnt(0)                                       // 00000000695C: BF8CC07F
	s_mul_i32 s31, s30, 8                                      // 000000006960: 921F881E
	v_mov_b32_e32 v4, v22                                      // 000000006964: 7E080316
	global_atomic_pk_add_bf16 v4, v88, s[16:17]                // 000000006968: DD488000 00105804
	v_add_u32_e64 v4, v4, s31                                  // 000000006970: D1340004 00003F04
	global_atomic_pk_add_bf16 v4, v89, s[16:17]                // 000000006978: DD488000 00105904
	v_add_u32_e64 v4, v4, s31                                  // 000000006980: D1340004 00003F04
	global_atomic_pk_add_bf16 v4, v90, s[16:17]                // 000000006988: DD488000 00105A04
	v_add_u32_e64 v4, v4, s31                                  // 000000006990: D1340004 00003F04
	global_atomic_pk_add_bf16 v4, v91, s[16:17]                // 000000006998: DD488000 00105B04
	v_add_u32_e64 v4, v4, s31                                  // 0000000069A0: D1340004 00003F04
	global_atomic_pk_add_bf16 v4, v92, s[16:17]                // 0000000069A8: DD488000 00105C04
	v_add_u32_e64 v4, v4, s31                                  // 0000000069B0: D1340004 00003F04
	global_atomic_pk_add_bf16 v4, v93, s[16:17]                // 0000000069B8: DD488000 00105D04
	v_add_u32_e64 v4, v4, s31                                  // 0000000069C0: D1340004 00003F04
	global_atomic_pk_add_bf16 v4, v94, s[16:17]                // 0000000069C8: DD488000 00105E04
	v_add_u32_e64 v4, v4, s31                                  // 0000000069D0: D1340004 00003F04
	global_atomic_pk_add_bf16 v4, v95, s[16:17]                // 0000000069D8: DD488000 00105F04
	v_add_u32_e64 v4, v4, s31                                  // 0000000069E0: D1340004 00003F04
	global_atomic_pk_add_bf16 v4, v96, s[16:17]                // 0000000069E8: DD488000 00106004
	v_add_u32_e64 v4, v4, s31                                  // 0000000069F0: D1340004 00003F04
	global_atomic_pk_add_bf16 v4, v97, s[16:17]                // 0000000069F8: DD488000 00106104
	v_add_u32_e64 v4, v4, s31                                  // 000000006A00: D1340004 00003F04
	global_atomic_pk_add_bf16 v4, v98, s[16:17]                // 000000006A08: DD488000 00106204
	v_add_u32_e64 v4, v4, s31                                  // 000000006A10: D1340004 00003F04
	global_atomic_pk_add_bf16 v4, v99, s[16:17]                // 000000006A18: DD488000 00106304
	v_add_u32_e64 v4, v4, s31                                  // 000000006A20: D1340004 00003F04
	global_atomic_pk_add_bf16 v4, v100, s[16:17]               // 000000006A28: DD488000 00106404
	v_add_u32_e64 v4, v4, s31                                  // 000000006A30: D1340004 00003F04
	global_atomic_pk_add_bf16 v4, v101, s[16:17]               // 000000006A38: DD488000 00106504
	v_add_u32_e64 v4, v4, s31                                  // 000000006A40: D1340004 00003F04
	global_atomic_pk_add_bf16 v4, v102, s[16:17]               // 000000006A48: DD488000 00106604
	v_add_u32_e64 v4, v4, s31                                  // 000000006A50: D1340004 00003F04
	global_atomic_pk_add_bf16 v4, v103, s[16:17]               // 000000006A58: DD488000 00106704
	v_add_u32_e64 v4, v4, s31                                  // 000000006A60: D1340004 00003F04
	global_atomic_pk_add_bf16 v4, v104, s[16:17]               // 000000006A68: DD488000 00106804
	v_add_u32_e64 v4, v4, s31                                  // 000000006A70: D1340004 00003F04
	global_atomic_pk_add_bf16 v4, v105, s[16:17]               // 000000006A78: DD488000 00106904
	v_add_u32_e64 v4, v4, s31                                  // 000000006A80: D1340004 00003F04
	global_atomic_pk_add_bf16 v4, v106, s[16:17]               // 000000006A88: DD488000 00106A04
	v_add_u32_e64 v4, v4, s31                                  // 000000006A90: D1340004 00003F04
	global_atomic_pk_add_bf16 v4, v107, s[16:17]               // 000000006A98: DD488000 00106B04
	v_add_u32_e64 v4, v4, s31                                  // 000000006AA0: D1340004 00003F04
	s_branch label_166B                                        // 000000006AA8: BF820600

0000000000006aac <label_106B>:
	v_mov_b32_e32 v5, 0                                        // 000000006AAC: 7E0A0280
	s_and_b32 s17, s17, 0xffff                                 // 000000006AB0: 8611FF11 0000FFFF
	s_cmp_lt_u32 s50, 1                                        // 000000006AB8: BF0A8132
	s_cbranch_scc0 label_120D                                  // 000000006ABC: BF84019D
	v_lshrrev_b32_e32 v4, 4, v0                                // 000000006AC0: 20080084
	v_mul_u32_u24_e32 v43, 0x44, v4                            // 000000006AC4: 105608FF 00000044
	v_and_b32_e32 v4, 15, v0                                   // 000000006ACC: 2608008F
	v_mul_lo_u32 v5, 4, v4                                     // 000000006AD0: D2850005 00020884
	v_add_u32_e32 v43, v5, v43                                 // 000000006AD8: 68565705
	s_mul_i32 s31, s24, 0x110                                  // 000000006ADC: 921FFF18 00000110
	v_add_u32_e32 v43, s31, v43                                // 000000006AE4: 6856561F
	v_lshlrev_b32_e32 v43, 2, v43                              // 000000006AE8: 24565682
	v_lshrrev_b32_e32 v4, 2, v0                                // 000000006AEC: 20080082
	v_mul_u32_u24_e32 v46, 0x44, v4                            // 000000006AF0: 105C08FF 00000044
	v_and_b32_e32 v4, 3, v0                                    // 000000006AF8: 26080083
	v_add_u32_e32 v46, v4, v46                                 // 000000006AFC: 685C5D04
	s_mul_i32 s31, s24, 4                                      // 000000006B00: 921F8418
	v_add_u32_e32 v46, s31, v46                                // 000000006B04: 685C5C1F
	v_lshlrev_b32_e32 v46, 2, v46                              // 000000006B08: 245C5C82
	s_lshr_b32 s31, s51, 2                                     // 000000006B0C: 8F1F8233
	s_and_b32 s32, s51, 3                                      // 000000006B10: 86208333
	s_cmp_lt_u32 s24, s32                                      // 000000006B14: BF0A2018
	s_cselect_b32 s32, 1, 0                                    // 000000006B18: 85208081
	s_add_u32 s51, s31, s32                                    // 000000006B1C: 8033201F
	s_mov_b32 s33, 0                                           // 000000006B20: BEA10080
	s_waitcnt vmcnt(0) expcnt(0) lgkmcnt(0)                    // 000000006B24: BF8C0000
	s_barrier                                                  // 000000006B28: BF8A0000
	ds_write_b128 v43, v[48:51]                                // 000000006B2C: D9BE0000 0000302B
	ds_write_b128 v43, v[52:55] offset:4352                    // 000000006B34: D9BE1100 0000342B
	ds_write_b128 v43, v[56:59] offset:8704                    // 000000006B3C: D9BE2200 0000382B
	ds_write_b128 v43, v[60:63] offset:13056                   // 000000006B44: D9BE3300 00003C2B
	ds_write_b128 v43, v[64:67] offset:17408                   // 000000006B4C: D9BE4400 0000402B
	ds_write_b128 v43, v[68:71] offset:21760                   // 000000006B54: D9BE5500 0000442B
	ds_write_b128 v43, v[72:75] offset:26112                   // 000000006B5C: D9BE6600 0000482B
	ds_write_b128 v43, v[76:79] offset:30464                   // 000000006B64: D9BE7700 00004C2B
	ds_write_b128 v43, v[80:83] offset:34816                   // 000000006B6C: D9BE8800 0000502B
	ds_write_b128 v43, v[84:87] offset:39168                   // 000000006B74: D9BE9900 0000542B
	s_waitcnt lgkmcnt(0)                                       // 000000006B7C: BF8CC07F
	s_barrier                                                  // 000000006B80: BF8A0000
	ds_read_b32 v48, v46                                       // 000000006B84: D86C0000 3000002E
	ds_read_b32 v49, v46 offset:64                             // 000000006B8C: D86C0040 3100002E
	ds_read_b32 v50, v46 offset:128                            // 000000006B94: D86C0080 3200002E
	ds_read_b32 v51, v46 offset:192                            // 000000006B9C: D86C00C0 3300002E
	ds_read_b32 v52, v46 offset:4352                           // 000000006BA4: D86C1100 3400002E
	ds_read_b32 v53, v46 offset:4416                           // 000000006BAC: D86C1140 3500002E
	ds_read_b32 v54, v46 offset:4480                           // 000000006BB4: D86C1180 3600002E
	ds_read_b32 v55, v46 offset:4544                           // 000000006BBC: D86C11C0 3700002E
	ds_read_b32 v56, v46 offset:8704                           // 000000006BC4: D86C2200 3800002E
	ds_read_b32 v57, v46 offset:8768                           // 000000006BCC: D86C2240 3900002E
	ds_read_b32 v58, v46 offset:8832                           // 000000006BD4: D86C2280 3A00002E
	ds_read_b32 v59, v46 offset:8896                           // 000000006BDC: D86C22C0 3B00002E
	ds_read_b32 v60, v46 offset:13056                          // 000000006BE4: D86C3300 3C00002E
	ds_read_b32 v61, v46 offset:13120                          // 000000006BEC: D86C3340 3D00002E
	ds_read_b32 v62, v46 offset:13184                          // 000000006BF4: D86C3380 3E00002E
	ds_read_b32 v63, v46 offset:13248                          // 000000006BFC: D86C33C0 3F00002E
	ds_read_b32 v64, v46 offset:17408                          // 000000006C04: D86C4400 4000002E
	ds_read_b32 v65, v46 offset:17472                          // 000000006C0C: D86C4440 4100002E
	ds_read_b32 v66, v46 offset:17536                          // 000000006C14: D86C4480 4200002E
	ds_read_b32 v67, v46 offset:17600                          // 000000006C1C: D86C44C0 4300002E
	ds_read_b32 v68, v46 offset:21760                          // 000000006C24: D86C5500 4400002E
	ds_read_b32 v69, v46 offset:21824                          // 000000006C2C: D86C5540 4500002E
	ds_read_b32 v70, v46 offset:21888                          // 000000006C34: D86C5580 4600002E
	ds_read_b32 v71, v46 offset:21952                          // 000000006C3C: D86C55C0 4700002E
	ds_read_b32 v72, v46 offset:26112                          // 000000006C44: D86C6600 4800002E
	ds_read_b32 v73, v46 offset:26176                          // 000000006C4C: D86C6640 4900002E
	ds_read_b32 v74, v46 offset:26240                          // 000000006C54: D86C6680 4A00002E
	ds_read_b32 v75, v46 offset:26304                          // 000000006C5C: D86C66C0 4B00002E
	ds_read_b32 v76, v46 offset:30464                          // 000000006C64: D86C7700 4C00002E
	ds_read_b32 v77, v46 offset:30528                          // 000000006C6C: D86C7740 4D00002E
	ds_read_b32 v78, v46 offset:30592                          // 000000006C74: D86C7780 4E00002E
	ds_read_b32 v79, v46 offset:30656                          // 000000006C7C: D86C77C0 4F00002E
	ds_read_b32 v80, v46 offset:34816                          // 000000006C84: D86C8800 5000002E
	ds_read_b32 v81, v46 offset:34880                          // 000000006C8C: D86C8840 5100002E
	ds_read_b32 v82, v46 offset:34944                          // 000000006C94: D86C8880 5200002E
	ds_read_b32 v83, v46 offset:35008                          // 000000006C9C: D86C88C0 5300002E
	ds_read_b32 v84, v46 offset:39168                          // 000000006CA4: D86C9900 5400002E
	ds_read_b32 v85, v46 offset:39232                          // 000000006CAC: D86C9940 5500002E
	ds_read_b32 v86, v46 offset:39296                          // 000000006CB4: D86C9980 5600002E
	ds_read_b32 v87, v46 offset:39360                          // 000000006CBC: D86C99C0 5700002E
	s_waitcnt lgkmcnt(0)                                       // 000000006CC4: BF8CC07F
	s_mul_i32 s31, s30, 4                                      // 000000006CC8: 921F841E
	v_mov_b32_e32 v4, v22                                      // 000000006CCC: 7E080316
	s_cmp_lt_i32 s33, s51                                      // 000000006CD0: BF043321
	s_cbranch_scc0 label_166B                                  // 000000006CD4: BF840575
	global_atomic_add_f32 v4, v48, s[16:17]                    // 000000006CD8: DD348000 00103004
	v_add_u32_e64 v4, v4, s31                                  // 000000006CE0: D1340004 00003F04
	s_addk_i32 s33, 0x1                                        // 000000006CE8: B7210001
	s_cmp_lt_i32 s33, s51                                      // 000000006CEC: BF043321
	s_cbranch_scc0 label_166B                                  // 000000006CF0: BF84056E
	global_atomic_add_f32 v4, v49, s[16:17]                    // 000000006CF4: DD348000 00103104
	v_add_u32_e64 v4, v4, s31                                  // 000000006CFC: D1340004 00003F04
	s_addk_i32 s33, 0x1                                        // 000000006D04: B7210001
	s_cmp_lt_i32 s33, s51                                      // 000000006D08: BF043321
	s_cbranch_scc0 label_166B                                  // 000000006D0C: BF840567
	global_atomic_add_f32 v4, v50, s[16:17]                    // 000000006D10: DD348000 00103204
	v_add_u32_e64 v4, v4, s31                                  // 000000006D18: D1340004 00003F04
	s_addk_i32 s33, 0x1                                        // 000000006D20: B7210001
	s_cmp_lt_i32 s33, s51                                      // 000000006D24: BF043321
	s_cbranch_scc0 label_166B                                  // 000000006D28: BF840560
	global_atomic_add_f32 v4, v51, s[16:17]                    // 000000006D2C: DD348000 00103304
	v_add_u32_e64 v4, v4, s31                                  // 000000006D34: D1340004 00003F04
	s_addk_i32 s33, 0x1                                        // 000000006D3C: B7210001
	s_cmp_lt_i32 s33, s51                                      // 000000006D40: BF043321
	s_cbranch_scc0 label_166B                                  // 000000006D44: BF840559
	global_atomic_add_f32 v4, v52, s[16:17]                    // 000000006D48: DD348000 00103404
	v_add_u32_e64 v4, v4, s31                                  // 000000006D50: D1340004 00003F04
	s_addk_i32 s33, 0x1                                        // 000000006D58: B7210001
	s_cmp_lt_i32 s33, s51                                      // 000000006D5C: BF043321
	s_cbranch_scc0 label_166B                                  // 000000006D60: BF840552
	global_atomic_add_f32 v4, v53, s[16:17]                    // 000000006D64: DD348000 00103504
	v_add_u32_e64 v4, v4, s31                                  // 000000006D6C: D1340004 00003F04
	s_addk_i32 s33, 0x1                                        // 000000006D74: B7210001
	s_cmp_lt_i32 s33, s51                                      // 000000006D78: BF043321
	s_cbranch_scc0 label_166B                                  // 000000006D7C: BF84054B
	global_atomic_add_f32 v4, v54, s[16:17]                    // 000000006D80: DD348000 00103604
	v_add_u32_e64 v4, v4, s31                                  // 000000006D88: D1340004 00003F04
	s_addk_i32 s33, 0x1                                        // 000000006D90: B7210001
	s_cmp_lt_i32 s33, s51                                      // 000000006D94: BF043321
	s_cbranch_scc0 label_166B                                  // 000000006D98: BF840544
	global_atomic_add_f32 v4, v55, s[16:17]                    // 000000006D9C: DD348000 00103704
	v_add_u32_e64 v4, v4, s31                                  // 000000006DA4: D1340004 00003F04
	s_addk_i32 s33, 0x1                                        // 000000006DAC: B7210001
	s_cmp_lt_i32 s33, s51                                      // 000000006DB0: BF043321
	s_cbranch_scc0 label_166B                                  // 000000006DB4: BF84053D
	global_atomic_add_f32 v4, v56, s[16:17]                    // 000000006DB8: DD348000 00103804
	v_add_u32_e64 v4, v4, s31                                  // 000000006DC0: D1340004 00003F04
	s_addk_i32 s33, 0x1                                        // 000000006DC8: B7210001
	s_cmp_lt_i32 s33, s51                                      // 000000006DCC: BF043321
	s_cbranch_scc0 label_166B                                  // 000000006DD0: BF840536
	global_atomic_add_f32 v4, v57, s[16:17]                    // 000000006DD4: DD348000 00103904
	v_add_u32_e64 v4, v4, s31                                  // 000000006DDC: D1340004 00003F04
	s_addk_i32 s33, 0x1                                        // 000000006DE4: B7210001
	s_cmp_lt_i32 s33, s51                                      // 000000006DE8: BF043321
	s_cbranch_scc0 label_166B                                  // 000000006DEC: BF84052F
	global_atomic_add_f32 v4, v58, s[16:17]                    // 000000006DF0: DD348000 00103A04
	v_add_u32_e64 v4, v4, s31                                  // 000000006DF8: D1340004 00003F04
	s_addk_i32 s33, 0x1                                        // 000000006E00: B7210001
	s_cmp_lt_i32 s33, s51                                      // 000000006E04: BF043321
	s_cbranch_scc0 label_166B                                  // 000000006E08: BF840528
	global_atomic_add_f32 v4, v59, s[16:17]                    // 000000006E0C: DD348000 00103B04
	v_add_u32_e64 v4, v4, s31                                  // 000000006E14: D1340004 00003F04
	s_addk_i32 s33, 0x1                                        // 000000006E1C: B7210001
	s_cmp_lt_i32 s33, s51                                      // 000000006E20: BF043321
	s_cbranch_scc0 label_166B                                  // 000000006E24: BF840521
	global_atomic_add_f32 v4, v60, s[16:17]                    // 000000006E28: DD348000 00103C04
	v_add_u32_e64 v4, v4, s31                                  // 000000006E30: D1340004 00003F04
	s_addk_i32 s33, 0x1                                        // 000000006E38: B7210001
	s_cmp_lt_i32 s33, s51                                      // 000000006E3C: BF043321
	s_cbranch_scc0 label_166B                                  // 000000006E40: BF84051A
	global_atomic_add_f32 v4, v61, s[16:17]                    // 000000006E44: DD348000 00103D04
	v_add_u32_e64 v4, v4, s31                                  // 000000006E4C: D1340004 00003F04
	s_addk_i32 s33, 0x1                                        // 000000006E54: B7210001
	s_cmp_lt_i32 s33, s51                                      // 000000006E58: BF043321
	s_cbranch_scc0 label_166B                                  // 000000006E5C: BF840513
	global_atomic_add_f32 v4, v62, s[16:17]                    // 000000006E60: DD348000 00103E04
	v_add_u32_e64 v4, v4, s31                                  // 000000006E68: D1340004 00003F04
	s_addk_i32 s33, 0x1                                        // 000000006E70: B7210001
	s_cmp_lt_i32 s33, s51                                      // 000000006E74: BF043321
	s_cbranch_scc0 label_166B                                  // 000000006E78: BF84050C
	global_atomic_add_f32 v4, v63, s[16:17]                    // 000000006E7C: DD348000 00103F04
	v_add_u32_e64 v4, v4, s31                                  // 000000006E84: D1340004 00003F04
	s_addk_i32 s33, 0x1                                        // 000000006E8C: B7210001
	s_cmp_lt_i32 s33, s51                                      // 000000006E90: BF043321
	s_cbranch_scc0 label_166B                                  // 000000006E94: BF840505
	global_atomic_add_f32 v4, v64, s[16:17]                    // 000000006E98: DD348000 00104004
	v_add_u32_e64 v4, v4, s31                                  // 000000006EA0: D1340004 00003F04
	s_addk_i32 s33, 0x1                                        // 000000006EA8: B7210001
	s_cmp_lt_i32 s33, s51                                      // 000000006EAC: BF043321
	s_cbranch_scc0 label_166B                                  // 000000006EB0: BF8404FE
	global_atomic_add_f32 v4, v65, s[16:17]                    // 000000006EB4: DD348000 00104104
	v_add_u32_e64 v4, v4, s31                                  // 000000006EBC: D1340004 00003F04
	s_addk_i32 s33, 0x1                                        // 000000006EC4: B7210001
	s_cmp_lt_i32 s33, s51                                      // 000000006EC8: BF043321
	s_cbranch_scc0 label_166B                                  // 000000006ECC: BF8404F7
	global_atomic_add_f32 v4, v66, s[16:17]                    // 000000006ED0: DD348000 00104204
	v_add_u32_e64 v4, v4, s31                                  // 000000006ED8: D1340004 00003F04
	s_addk_i32 s33, 0x1                                        // 000000006EE0: B7210001
	s_cmp_lt_i32 s33, s51                                      // 000000006EE4: BF043321
	s_cbranch_scc0 label_166B                                  // 000000006EE8: BF8404F0
	global_atomic_add_f32 v4, v67, s[16:17]                    // 000000006EEC: DD348000 00104304
	v_add_u32_e64 v4, v4, s31                                  // 000000006EF4: D1340004 00003F04
	s_addk_i32 s33, 0x1                                        // 000000006EFC: B7210001
	s_cmp_lt_i32 s33, s51                                      // 000000006F00: BF043321
	s_cbranch_scc0 label_166B                                  // 000000006F04: BF8404E9
	global_atomic_add_f32 v4, v68, s[16:17]                    // 000000006F08: DD348000 00104404
	v_add_u32_e64 v4, v4, s31                                  // 000000006F10: D1340004 00003F04
	s_addk_i32 s33, 0x1                                        // 000000006F18: B7210001
	s_cmp_lt_i32 s33, s51                                      // 000000006F1C: BF043321
	s_cbranch_scc0 label_166B                                  // 000000006F20: BF8404E2
	global_atomic_add_f32 v4, v69, s[16:17]                    // 000000006F24: DD348000 00104504
	v_add_u32_e64 v4, v4, s31                                  // 000000006F2C: D1340004 00003F04
	s_addk_i32 s33, 0x1                                        // 000000006F34: B7210001
	s_cmp_lt_i32 s33, s51                                      // 000000006F38: BF043321
	s_cbranch_scc0 label_166B                                  // 000000006F3C: BF8404DB
	global_atomic_add_f32 v4, v70, s[16:17]                    // 000000006F40: DD348000 00104604
	v_add_u32_e64 v4, v4, s31                                  // 000000006F48: D1340004 00003F04
	s_addk_i32 s33, 0x1                                        // 000000006F50: B7210001
	s_cmp_lt_i32 s33, s51                                      // 000000006F54: BF043321
	s_cbranch_scc0 label_166B                                  // 000000006F58: BF8404D4
	global_atomic_add_f32 v4, v71, s[16:17]                    // 000000006F5C: DD348000 00104704
	v_add_u32_e64 v4, v4, s31                                  // 000000006F64: D1340004 00003F04
	s_addk_i32 s33, 0x1                                        // 000000006F6C: B7210001
	s_cmp_lt_i32 s33, s51                                      // 000000006F70: BF043321
	s_cbranch_scc0 label_166B                                  // 000000006F74: BF8404CD
	global_atomic_add_f32 v4, v72, s[16:17]                    // 000000006F78: DD348000 00104804
	v_add_u32_e64 v4, v4, s31                                  // 000000006F80: D1340004 00003F04
	s_addk_i32 s33, 0x1                                        // 000000006F88: B7210001
	s_cmp_lt_i32 s33, s51                                      // 000000006F8C: BF043321
	s_cbranch_scc0 label_166B                                  // 000000006F90: BF8404C6
	global_atomic_add_f32 v4, v73, s[16:17]                    // 000000006F94: DD348000 00104904
	v_add_u32_e64 v4, v4, s31                                  // 000000006F9C: D1340004 00003F04
	s_addk_i32 s33, 0x1                                        // 000000006FA4: B7210001
	s_cmp_lt_i32 s33, s51                                      // 000000006FA8: BF043321
	s_cbranch_scc0 label_166B                                  // 000000006FAC: BF8404BF
	global_atomic_add_f32 v4, v74, s[16:17]                    // 000000006FB0: DD348000 00104A04
	v_add_u32_e64 v4, v4, s31                                  // 000000006FB8: D1340004 00003F04
	s_addk_i32 s33, 0x1                                        // 000000006FC0: B7210001
	s_cmp_lt_i32 s33, s51                                      // 000000006FC4: BF043321
	s_cbranch_scc0 label_166B                                  // 000000006FC8: BF8404B8
	global_atomic_add_f32 v4, v75, s[16:17]                    // 000000006FCC: DD348000 00104B04
	v_add_u32_e64 v4, v4, s31                                  // 000000006FD4: D1340004 00003F04
	s_addk_i32 s33, 0x1                                        // 000000006FDC: B7210001
	s_cmp_lt_i32 s33, s51                                      // 000000006FE0: BF043321
	s_cbranch_scc0 label_166B                                  // 000000006FE4: BF8404B1
	global_atomic_add_f32 v4, v76, s[16:17]                    // 000000006FE8: DD348000 00104C04
	v_add_u32_e64 v4, v4, s31                                  // 000000006FF0: D1340004 00003F04
	s_addk_i32 s33, 0x1                                        // 000000006FF8: B7210001
	s_cmp_lt_i32 s33, s51                                      // 000000006FFC: BF043321
	s_cbranch_scc0 label_166B                                  // 000000007000: BF8404AA
	global_atomic_add_f32 v4, v77, s[16:17]                    // 000000007004: DD348000 00104D04
	v_add_u32_e64 v4, v4, s31                                  // 00000000700C: D1340004 00003F04
	s_addk_i32 s33, 0x1                                        // 000000007014: B7210001
	s_cmp_lt_i32 s33, s51                                      // 000000007018: BF043321
	s_cbranch_scc0 label_166B                                  // 00000000701C: BF8404A3
	global_atomic_add_f32 v4, v78, s[16:17]                    // 000000007020: DD348000 00104E04
	v_add_u32_e64 v4, v4, s31                                  // 000000007028: D1340004 00003F04
	s_addk_i32 s33, 0x1                                        // 000000007030: B7210001
	s_cmp_lt_i32 s33, s51                                      // 000000007034: BF043321
	s_cbranch_scc0 label_166B                                  // 000000007038: BF84049C
	global_atomic_add_f32 v4, v79, s[16:17]                    // 00000000703C: DD348000 00104F04
	v_add_u32_e64 v4, v4, s31                                  // 000000007044: D1340004 00003F04
	s_addk_i32 s33, 0x1                                        // 00000000704C: B7210001
	s_cmp_lt_i32 s33, s51                                      // 000000007050: BF043321
	s_cbranch_scc0 label_166B                                  // 000000007054: BF840495
	global_atomic_add_f32 v4, v80, s[16:17]                    // 000000007058: DD348000 00105004
	v_add_u32_e64 v4, v4, s31                                  // 000000007060: D1340004 00003F04
	s_addk_i32 s33, 0x1                                        // 000000007068: B7210001
	s_cmp_lt_i32 s33, s51                                      // 00000000706C: BF043321
	s_cbranch_scc0 label_166B                                  // 000000007070: BF84048E
	global_atomic_add_f32 v4, v81, s[16:17]                    // 000000007074: DD348000 00105104
	v_add_u32_e64 v4, v4, s31                                  // 00000000707C: D1340004 00003F04
	s_addk_i32 s33, 0x1                                        // 000000007084: B7210001
	s_cmp_lt_i32 s33, s51                                      // 000000007088: BF043321
	s_cbranch_scc0 label_166B                                  // 00000000708C: BF840487
	global_atomic_add_f32 v4, v82, s[16:17]                    // 000000007090: DD348000 00105204
	v_add_u32_e64 v4, v4, s31                                  // 000000007098: D1340004 00003F04
	s_addk_i32 s33, 0x1                                        // 0000000070A0: B7210001
	s_cmp_lt_i32 s33, s51                                      // 0000000070A4: BF043321
	s_cbranch_scc0 label_166B                                  // 0000000070A8: BF840480
	global_atomic_add_f32 v4, v83, s[16:17]                    // 0000000070AC: DD348000 00105304
	v_add_u32_e64 v4, v4, s31                                  // 0000000070B4: D1340004 00003F04
	s_addk_i32 s33, 0x1                                        // 0000000070BC: B7210001
	s_cmp_lt_i32 s33, s51                                      // 0000000070C0: BF043321
	s_cbranch_scc0 label_166B                                  // 0000000070C4: BF840479
	global_atomic_add_f32 v4, v84, s[16:17]                    // 0000000070C8: DD348000 00105404
	v_add_u32_e64 v4, v4, s31                                  // 0000000070D0: D1340004 00003F04
	s_addk_i32 s33, 0x1                                        // 0000000070D8: B7210001
	s_cmp_lt_i32 s33, s51                                      // 0000000070DC: BF043321
	s_cbranch_scc0 label_166B                                  // 0000000070E0: BF840472
	global_atomic_add_f32 v4, v85, s[16:17]                    // 0000000070E4: DD348000 00105504
	v_add_u32_e64 v4, v4, s31                                  // 0000000070EC: D1340004 00003F04
	s_addk_i32 s33, 0x1                                        // 0000000070F4: B7210001
	s_cmp_lt_i32 s33, s51                                      // 0000000070F8: BF043321
	s_cbranch_scc0 label_166B                                  // 0000000070FC: BF84046B
	global_atomic_add_f32 v4, v86, s[16:17]                    // 000000007100: DD348000 00105604
	v_add_u32_e64 v4, v4, s31                                  // 000000007108: D1340004 00003F04
	s_addk_i32 s33, 0x1                                        // 000000007110: B7210001
	s_cmp_lt_i32 s33, s51                                      // 000000007114: BF043321
	s_cbranch_scc0 label_166B                                  // 000000007118: BF840464
	global_atomic_add_f32 v4, v87, s[16:17]                    // 00000000711C: DD348000 00105704
	v_add_u32_e64 v4, v4, s31                                  // 000000007124: D1340004 00003F04
	s_addk_i32 s33, 0x1                                        // 00000000712C: B7210001
	s_branch label_166B                                        // 000000007130: BF82045E

0000000000007134 <label_120D>:
	v_lshrrev_b32_e32 v4, 4, v0                                // 000000007134: 20080084
	v_mul_u32_u24_e32 v43, 34, v4                              // 000000007138: 105608A2
	v_and_b32_e32 v4, 15, v0                                   // 00000000713C: 2608008F
	v_mul_lo_u32 v5, 2, v4                                     // 000000007140: D2850005 00020882
	v_add_u32_e32 v43, v5, v43                                 // 000000007148: 68565705
	s_mul_i32 s31, s24, 0x88                                   // 00000000714C: 921FFF18 00000088
	v_add_u32_e32 v43, s31, v43                                // 000000007154: 6856561F
	v_lshlrev_b32_e32 v43, 2, v43                              // 000000007158: 24565682
	v_and_b32_e32 v4, 31, v0                                   // 00000000715C: 2608009F
	v_lshrrev_b32_e32 v5, 1, v4                                // 000000007160: 200A0881
	v_mul_u32_u24_e32 v46, 34, v5                              // 000000007164: 105C0AA2
	v_and_b32_e32 v5, 1, v4                                    // 000000007168: 260A0881
	v_add_u32_e32 v46, v5, v46                                 // 00000000716C: 685C5D05
	v_lshrrev_b32_e32 v4, 5, v0                                // 000000007170: 20080085
	v_mul_u32_u24_e32 v4, 8, v4                                // 000000007174: 10080888
	v_add_u32_e32 v46, v4, v46                                 // 000000007178: 685C5D04
	s_mul_i32 s31, s24, 2                                      // 00000000717C: 921F8218
	v_add_u32_e32 v46, s31, v46                                // 000000007180: 685C5C1F
	v_lshlrev_b32_e32 v46, 2, v46                              // 000000007184: 245C5C82
	s_lshr_b32 s31, s51, 2                                     // 000000007188: 8F1F8233
	s_and_b32 s32, s51, 3                                      // 00000000718C: 86208333
	s_cmp_lt_u32 s24, s32                                      // 000000007190: BF0A2018
	s_cselect_b32 s32, 1, 0                                    // 000000007194: 85208081
	s_add_u32 s51, s31, s32                                    // 000000007198: 8033201F
	s_mov_b32 s33, 0                                           // 00000000719C: BEA10080
	s_waitcnt vmcnt(0) expcnt(0) lgkmcnt(0)                    // 0000000071A0: BF8C0000
	s_barrier                                                  // 0000000071A4: BF8A0000
	v_cmp_u_f32_e64 s[56:57], v48, v48                         // 0000000071A8: D0480038 00026130
	v_add3_u32 v8, v48, v11, 1                                 // 0000000071B0: D1FF0008 02061730
	v_cndmask_b32_e64 v4, v8, v10, s[56:57]                    // 0000000071B8: D1000004 00E21508
	v_cmp_u_f32_e64 s[56:57], v49, v49                         // 0000000071C0: D0480038 00026331
	v_add3_u32 v8, v49, v11, 1                                 // 0000000071C8: D1FF0008 02061731
	v_cndmask_b32_e64 v5, v8, v10, s[56:57]                    // 0000000071D0: D1000005 00E21508
	v_perm_b32 v88, v5, v4, s35                                // 0000000071D8: D1ED0058 008E0905
	v_cmp_u_f32_e64 s[56:57], v50, v50                         // 0000000071E0: D0480038 00026532
	v_add3_u32 v8, v50, v11, 1                                 // 0000000071E8: D1FF0008 02061732
	v_cndmask_b32_e64 v4, v8, v10, s[56:57]                    // 0000000071F0: D1000004 00E21508
	v_cmp_u_f32_e64 s[56:57], v51, v51                         // 0000000071F8: D0480038 00026733
	v_add3_u32 v8, v51, v11, 1                                 // 000000007200: D1FF0008 02061733
	v_cndmask_b32_e64 v5, v8, v10, s[56:57]                    // 000000007208: D1000005 00E21508
	v_perm_b32 v89, v5, v4, s35                                // 000000007210: D1ED0059 008E0905
	v_cmp_u_f32_e64 s[56:57], v52, v52                         // 000000007218: D0480038 00026934
	v_add3_u32 v8, v52, v11, 1                                 // 000000007220: D1FF0008 02061734
	v_cndmask_b32_e64 v4, v8, v10, s[56:57]                    // 000000007228: D1000004 00E21508
	v_cmp_u_f32_e64 s[56:57], v53, v53                         // 000000007230: D0480038 00026B35
	v_add3_u32 v8, v53, v11, 1                                 // 000000007238: D1FF0008 02061735
	v_cndmask_b32_e64 v5, v8, v10, s[56:57]                    // 000000007240: D1000005 00E21508
	v_perm_b32 v90, v5, v4, s35                                // 000000007248: D1ED005A 008E0905
	v_cmp_u_f32_e64 s[56:57], v54, v54                         // 000000007250: D0480038 00026D36
	v_add3_u32 v8, v54, v11, 1                                 // 000000007258: D1FF0008 02061736
	v_cndmask_b32_e64 v4, v8, v10, s[56:57]                    // 000000007260: D1000004 00E21508
	v_cmp_u_f32_e64 s[56:57], v55, v55                         // 000000007268: D0480038 00026F37
	v_add3_u32 v8, v55, v11, 1                                 // 000000007270: D1FF0008 02061737
	v_cndmask_b32_e64 v5, v8, v10, s[56:57]                    // 000000007278: D1000005 00E21508
	v_perm_b32 v91, v5, v4, s35                                // 000000007280: D1ED005B 008E0905
	v_cmp_u_f32_e64 s[56:57], v56, v56                         // 000000007288: D0480038 00027138
	v_add3_u32 v8, v56, v11, 1                                 // 000000007290: D1FF0008 02061738
	v_cndmask_b32_e64 v4, v8, v10, s[56:57]                    // 000000007298: D1000004 00E21508
	v_cmp_u_f32_e64 s[56:57], v57, v57                         // 0000000072A0: D0480038 00027339
	v_add3_u32 v8, v57, v11, 1                                 // 0000000072A8: D1FF0008 02061739
	v_cndmask_b32_e64 v5, v8, v10, s[56:57]                    // 0000000072B0: D1000005 00E21508
	v_perm_b32 v92, v5, v4, s35                                // 0000000072B8: D1ED005C 008E0905
	v_cmp_u_f32_e64 s[56:57], v58, v58                         // 0000000072C0: D0480038 0002753A
	v_add3_u32 v8, v58, v11, 1                                 // 0000000072C8: D1FF0008 0206173A
	v_cndmask_b32_e64 v4, v8, v10, s[56:57]                    // 0000000072D0: D1000004 00E21508
	v_cmp_u_f32_e64 s[56:57], v59, v59                         // 0000000072D8: D0480038 0002773B
	v_add3_u32 v8, v59, v11, 1                                 // 0000000072E0: D1FF0008 0206173B
	v_cndmask_b32_e64 v5, v8, v10, s[56:57]                    // 0000000072E8: D1000005 00E21508
	v_perm_b32 v93, v5, v4, s35                                // 0000000072F0: D1ED005D 008E0905
	v_cmp_u_f32_e64 s[56:57], v60, v60                         // 0000000072F8: D0480038 0002793C
	v_add3_u32 v8, v60, v11, 1                                 // 000000007300: D1FF0008 0206173C
	v_cndmask_b32_e64 v4, v8, v10, s[56:57]                    // 000000007308: D1000004 00E21508
	v_cmp_u_f32_e64 s[56:57], v61, v61                         // 000000007310: D0480038 00027B3D
	v_add3_u32 v8, v61, v11, 1                                 // 000000007318: D1FF0008 0206173D
	v_cndmask_b32_e64 v5, v8, v10, s[56:57]                    // 000000007320: D1000005 00E21508
	v_perm_b32 v94, v5, v4, s35                                // 000000007328: D1ED005E 008E0905
	v_cmp_u_f32_e64 s[56:57], v62, v62                         // 000000007330: D0480038 00027D3E
	v_add3_u32 v8, v62, v11, 1                                 // 000000007338: D1FF0008 0206173E
	v_cndmask_b32_e64 v4, v8, v10, s[56:57]                    // 000000007340: D1000004 00E21508
	v_cmp_u_f32_e64 s[56:57], v63, v63                         // 000000007348: D0480038 00027F3F
	v_add3_u32 v8, v63, v11, 1                                 // 000000007350: D1FF0008 0206173F
	v_cndmask_b32_e64 v5, v8, v10, s[56:57]                    // 000000007358: D1000005 00E21508
	v_perm_b32 v95, v5, v4, s35                                // 000000007360: D1ED005F 008E0905
	v_cmp_u_f32_e64 s[56:57], v64, v64                         // 000000007368: D0480038 00028140
	v_add3_u32 v8, v64, v11, 1                                 // 000000007370: D1FF0008 02061740
	v_cndmask_b32_e64 v4, v8, v10, s[56:57]                    // 000000007378: D1000004 00E21508
	v_cmp_u_f32_e64 s[56:57], v65, v65                         // 000000007380: D0480038 00028341
	v_add3_u32 v8, v65, v11, 1                                 // 000000007388: D1FF0008 02061741
	v_cndmask_b32_e64 v5, v8, v10, s[56:57]                    // 000000007390: D1000005 00E21508
	v_perm_b32 v96, v5, v4, s35                                // 000000007398: D1ED0060 008E0905
	v_cmp_u_f32_e64 s[56:57], v66, v66                         // 0000000073A0: D0480038 00028542
	v_add3_u32 v8, v66, v11, 1                                 // 0000000073A8: D1FF0008 02061742
	v_cndmask_b32_e64 v4, v8, v10, s[56:57]                    // 0000000073B0: D1000004 00E21508
	v_cmp_u_f32_e64 s[56:57], v67, v67                         // 0000000073B8: D0480038 00028743
	v_add3_u32 v8, v67, v11, 1                                 // 0000000073C0: D1FF0008 02061743
	v_cndmask_b32_e64 v5, v8, v10, s[56:57]                    // 0000000073C8: D1000005 00E21508
	v_perm_b32 v97, v5, v4, s35                                // 0000000073D0: D1ED0061 008E0905
	v_cmp_u_f32_e64 s[56:57], v68, v68                         // 0000000073D8: D0480038 00028944
	v_add3_u32 v8, v68, v11, 1                                 // 0000000073E0: D1FF0008 02061744
	v_cndmask_b32_e64 v4, v8, v10, s[56:57]                    // 0000000073E8: D1000004 00E21508
	v_cmp_u_f32_e64 s[56:57], v69, v69                         // 0000000073F0: D0480038 00028B45
	v_add3_u32 v8, v69, v11, 1                                 // 0000000073F8: D1FF0008 02061745
	v_cndmask_b32_e64 v5, v8, v10, s[56:57]                    // 000000007400: D1000005 00E21508
	v_perm_b32 v98, v5, v4, s35                                // 000000007408: D1ED0062 008E0905
	v_cmp_u_f32_e64 s[56:57], v70, v70                         // 000000007410: D0480038 00028D46
	v_add3_u32 v8, v70, v11, 1                                 // 000000007418: D1FF0008 02061746
	v_cndmask_b32_e64 v4, v8, v10, s[56:57]                    // 000000007420: D1000004 00E21508
	v_cmp_u_f32_e64 s[56:57], v71, v71                         // 000000007428: D0480038 00028F47
	v_add3_u32 v8, v71, v11, 1                                 // 000000007430: D1FF0008 02061747
	v_cndmask_b32_e64 v5, v8, v10, s[56:57]                    // 000000007438: D1000005 00E21508
	v_perm_b32 v99, v5, v4, s35                                // 000000007440: D1ED0063 008E0905
	v_cmp_u_f32_e64 s[56:57], v72, v72                         // 000000007448: D0480038 00029148
	v_add3_u32 v8, v72, v11, 1                                 // 000000007450: D1FF0008 02061748
	v_cndmask_b32_e64 v4, v8, v10, s[56:57]                    // 000000007458: D1000004 00E21508
	v_cmp_u_f32_e64 s[56:57], v73, v73                         // 000000007460: D0480038 00029349
	v_add3_u32 v8, v73, v11, 1                                 // 000000007468: D1FF0008 02061749
	v_cndmask_b32_e64 v5, v8, v10, s[56:57]                    // 000000007470: D1000005 00E21508
	v_perm_b32 v100, v5, v4, s35                               // 000000007478: D1ED0064 008E0905
	v_cmp_u_f32_e64 s[56:57], v74, v74                         // 000000007480: D0480038 0002954A
	v_add3_u32 v8, v74, v11, 1                                 // 000000007488: D1FF0008 0206174A
	v_cndmask_b32_e64 v4, v8, v10, s[56:57]                    // 000000007490: D1000004 00E21508
	v_cmp_u_f32_e64 s[56:57], v75, v75                         // 000000007498: D0480038 0002974B
	v_add3_u32 v8, v75, v11, 1                                 // 0000000074A0: D1FF0008 0206174B
	v_cndmask_b32_e64 v5, v8, v10, s[56:57]                    // 0000000074A8: D1000005 00E21508
	v_perm_b32 v101, v5, v4, s35                               // 0000000074B0: D1ED0065 008E0905
	v_cmp_u_f32_e64 s[56:57], v76, v76                         // 0000000074B8: D0480038 0002994C
	v_add3_u32 v8, v76, v11, 1                                 // 0000000074C0: D1FF0008 0206174C
	v_cndmask_b32_e64 v4, v8, v10, s[56:57]                    // 0000000074C8: D1000004 00E21508
	v_cmp_u_f32_e64 s[56:57], v77, v77                         // 0000000074D0: D0480038 00029B4D
	v_add3_u32 v8, v77, v11, 1                                 // 0000000074D8: D1FF0008 0206174D
	v_cndmask_b32_e64 v5, v8, v10, s[56:57]                    // 0000000074E0: D1000005 00E21508
	v_perm_b32 v102, v5, v4, s35                               // 0000000074E8: D1ED0066 008E0905
	v_cmp_u_f32_e64 s[56:57], v78, v78                         // 0000000074F0: D0480038 00029D4E
	v_add3_u32 v8, v78, v11, 1                                 // 0000000074F8: D1FF0008 0206174E
	v_cndmask_b32_e64 v4, v8, v10, s[56:57]                    // 000000007500: D1000004 00E21508
	v_cmp_u_f32_e64 s[56:57], v79, v79                         // 000000007508: D0480038 00029F4F
	v_add3_u32 v8, v79, v11, 1                                 // 000000007510: D1FF0008 0206174F
	v_cndmask_b32_e64 v5, v8, v10, s[56:57]                    // 000000007518: D1000005 00E21508
	v_perm_b32 v103, v5, v4, s35                               // 000000007520: D1ED0067 008E0905
	v_cmp_u_f32_e64 s[56:57], v80, v80                         // 000000007528: D0480038 0002A150
	v_add3_u32 v8, v80, v11, 1                                 // 000000007530: D1FF0008 02061750
	v_cndmask_b32_e64 v4, v8, v10, s[56:57]                    // 000000007538: D1000004 00E21508
	v_cmp_u_f32_e64 s[56:57], v81, v81                         // 000000007540: D0480038 0002A351
	v_add3_u32 v8, v81, v11, 1                                 // 000000007548: D1FF0008 02061751
	v_cndmask_b32_e64 v5, v8, v10, s[56:57]                    // 000000007550: D1000005 00E21508
	v_perm_b32 v104, v5, v4, s35                               // 000000007558: D1ED0068 008E0905
	v_cmp_u_f32_e64 s[56:57], v82, v82                         // 000000007560: D0480038 0002A552
	v_add3_u32 v8, v82, v11, 1                                 // 000000007568: D1FF0008 02061752
	v_cndmask_b32_e64 v4, v8, v10, s[56:57]                    // 000000007570: D1000004 00E21508
	v_cmp_u_f32_e64 s[56:57], v83, v83                         // 000000007578: D0480038 0002A753
	v_add3_u32 v8, v83, v11, 1                                 // 000000007580: D1FF0008 02061753
	v_cndmask_b32_e64 v5, v8, v10, s[56:57]                    // 000000007588: D1000005 00E21508
	v_perm_b32 v105, v5, v4, s35                               // 000000007590: D1ED0069 008E0905
	v_cmp_u_f32_e64 s[56:57], v84, v84                         // 000000007598: D0480038 0002A954
	v_add3_u32 v8, v84, v11, 1                                 // 0000000075A0: D1FF0008 02061754
	v_cndmask_b32_e64 v4, v8, v10, s[56:57]                    // 0000000075A8: D1000004 00E21508
	v_cmp_u_f32_e64 s[56:57], v85, v85                         // 0000000075B0: D0480038 0002AB55
	v_add3_u32 v8, v85, v11, 1                                 // 0000000075B8: D1FF0008 02061755
	v_cndmask_b32_e64 v5, v8, v10, s[56:57]                    // 0000000075C0: D1000005 00E21508
	v_perm_b32 v106, v5, v4, s35                               // 0000000075C8: D1ED006A 008E0905
	v_cmp_u_f32_e64 s[56:57], v86, v86                         // 0000000075D0: D0480038 0002AD56
	v_add3_u32 v8, v86, v11, 1                                 // 0000000075D8: D1FF0008 02061756
	v_cndmask_b32_e64 v4, v8, v10, s[56:57]                    // 0000000075E0: D1000004 00E21508
	v_cmp_u_f32_e64 s[56:57], v87, v87                         // 0000000075E8: D0480038 0002AF57
	v_add3_u32 v8, v87, v11, 1                                 // 0000000075F0: D1FF0008 02061757
	v_cndmask_b32_e64 v5, v8, v10, s[56:57]                    // 0000000075F8: D1000005 00E21508
	v_perm_b32 v107, v5, v4, s35                               // 000000007600: D1ED006B 008E0905
	ds_write_b64 v43, v[88:89]                                 // 000000007608: D89A0000 0000582B
	ds_write_b64 v43, v[90:91] offset:2176                     // 000000007610: D89A0880 00005A2B
	ds_write_b64 v43, v[92:93] offset:4352                     // 000000007618: D89A1100 00005C2B
	ds_write_b64 v43, v[94:95] offset:6528                     // 000000007620: D89A1980 00005E2B
	ds_write_b64 v43, v[96:97] offset:8704                     // 000000007628: D89A2200 0000602B
	ds_write_b64 v43, v[98:99] offset:10880                    // 000000007630: D89A2A80 0000622B
	ds_write_b64 v43, v[100:101] offset:13056                  // 000000007638: D89A3300 0000642B
	ds_write_b64 v43, v[102:103] offset:15232                  // 000000007640: D89A3B80 0000662B
	ds_write_b64 v43, v[104:105] offset:17408                  // 000000007648: D89A4400 0000682B
	ds_write_b64 v43, v[106:107] offset:19584                  // 000000007650: D89A4C80 00006A2B
	s_waitcnt lgkmcnt(0)                                       // 000000007658: BF8CC07F
	s_barrier                                                  // 00000000765C: BF8A0000
	ds_read_b32 v88, v46                                       // 000000007660: D86C0000 5800002E
	ds_read_b32 v89, v46 offset:64                             // 000000007668: D86C0040 5900002E
	ds_read_b32 v90, v46 offset:2176                           // 000000007670: D86C0880 5A00002E
	ds_read_b32 v91, v46 offset:2240                           // 000000007678: D86C08C0 5B00002E
	ds_read_b32 v92, v46 offset:4352                           // 000000007680: D86C1100 5C00002E
	ds_read_b32 v93, v46 offset:4416                           // 000000007688: D86C1140 5D00002E
	ds_read_b32 v94, v46 offset:6528                           // 000000007690: D86C1980 5E00002E
	ds_read_b32 v95, v46 offset:6592                           // 000000007698: D86C19C0 5F00002E
	ds_read_b32 v96, v46 offset:8704                           // 0000000076A0: D86C2200 6000002E
	ds_read_b32 v97, v46 offset:8768                           // 0000000076A8: D86C2240 6100002E
	ds_read_b32 v98, v46 offset:10880                          // 0000000076B0: D86C2A80 6200002E
	ds_read_b32 v99, v46 offset:10944                          // 0000000076B8: D86C2AC0 6300002E
	ds_read_b32 v100, v46 offset:13056                         // 0000000076C0: D86C3300 6400002E
	ds_read_b32 v101, v46 offset:13120                         // 0000000076C8: D86C3340 6500002E
	ds_read_b32 v102, v46 offset:15232                         // 0000000076D0: D86C3B80 6600002E
	ds_read_b32 v103, v46 offset:15296                         // 0000000076D8: D86C3BC0 6700002E
	ds_read_b32 v104, v46 offset:17408                         // 0000000076E0: D86C4400 6800002E
	ds_read_b32 v105, v46 offset:17472                         // 0000000076E8: D86C4440 6900002E
	ds_read_b32 v106, v46 offset:19584                         // 0000000076F0: D86C4C80 6A00002E
	ds_read_b32 v107, v46 offset:19648                         // 0000000076F8: D86C4CC0 6B00002E
	s_waitcnt lgkmcnt(0)                                       // 000000007700: BF8CC07F
	s_mul_i32 s31, s30, 8                                      // 000000007704: 921F881E
	v_mov_b32_e32 v4, v22                                      // 000000007708: 7E080316
	s_cmp_lt_i32 s33, s51                                      // 00000000770C: BF043321
	s_cbranch_scc0 label_166B                                  // 000000007710: BF8402E6
	s_mov_b32 s54, -1                                          // 000000007714: BEB600C1
	s_mov_b32 s55, 0                                           // 000000007718: BEB70080
	s_mov_b64 exec, s[54:55]                                   // 00000000771C: BEFE0136
	global_atomic_pk_add_bf16 v4, v88, s[16:17]                // 000000007720: DD488000 00105804
	s_addk_i32 s33, 0x1                                        // 000000007728: B7210001
	s_cmp_lt_i32 s33, s51                                      // 00000000772C: BF043321
	s_cbranch_scc0 label_166B                                  // 000000007730: BF8402DE
	s_mov_b32 s54, 0                                           // 000000007734: BEB60080
	s_mov_b32 s55, -1                                          // 000000007738: BEB700C1
	s_mov_b64 exec, s[54:55]                                   // 00000000773C: BEFE0136
	global_atomic_pk_add_bf16 v4, v88, s[16:17]                // 000000007740: DD488000 00105804
	s_addk_i32 s33, 0x1                                        // 000000007748: B7210001
	s_mov_b32 s54, -1                                          // 00000000774C: BEB600C1
	s_mov_b32 s55, -1                                          // 000000007750: BEB700C1
	s_mov_b64 exec, s[54:55]                                   // 000000007754: BEFE0136
	v_add_u32_e64 v4, v4, s31                                  // 000000007758: D1340004 00003F04
	s_cmp_lt_i32 s33, s51                                      // 000000007760: BF043321
	s_cbranch_scc0 label_166B                                  // 000000007764: BF8402D1
	s_mov_b32 s54, -1                                          // 000000007768: BEB600C1
	s_mov_b32 s55, 0                                           // 00000000776C: BEB70080
	s_mov_b64 exec, s[54:55]                                   // 000000007770: BEFE0136
	global_atomic_pk_add_bf16 v4, v89, s[16:17]                // 000000007774: DD488000 00105904
	s_addk_i32 s33, 0x1                                        // 00000000777C: B7210001
	s_cmp_lt_i32 s33, s51                                      // 000000007780: BF043321
	s_cbranch_scc0 label_166B                                  // 000000007784: BF8402C9
	s_mov_b32 s54, 0                                           // 000000007788: BEB60080
	s_mov_b32 s55, -1                                          // 00000000778C: BEB700C1
	s_mov_b64 exec, s[54:55]                                   // 000000007790: BEFE0136
	global_atomic_pk_add_bf16 v4, v89, s[16:17]                // 000000007794: DD488000 00105904
	s_addk_i32 s33, 0x1                                        // 00000000779C: B7210001
	s_mov_b32 s54, -1                                          // 0000000077A0: BEB600C1
	s_mov_b32 s55, -1                                          // 0000000077A4: BEB700C1
	s_mov_b64 exec, s[54:55]                                   // 0000000077A8: BEFE0136
	v_add_u32_e64 v4, v4, s31                                  // 0000000077AC: D1340004 00003F04
	s_cmp_lt_i32 s33, s51                                      // 0000000077B4: BF043321
	s_cbranch_scc0 label_166B                                  // 0000000077B8: BF8402BC
	s_mov_b32 s54, -1                                          // 0000000077BC: BEB600C1
	s_mov_b32 s55, 0                                           // 0000000077C0: BEB70080
	s_mov_b64 exec, s[54:55]                                   // 0000000077C4: BEFE0136
	global_atomic_pk_add_bf16 v4, v90, s[16:17]                // 0000000077C8: DD488000 00105A04
	s_addk_i32 s33, 0x1                                        // 0000000077D0: B7210001
	s_cmp_lt_i32 s33, s51                                      // 0000000077D4: BF043321
	s_cbranch_scc0 label_166B                                  // 0000000077D8: BF8402B4
	s_mov_b32 s54, 0                                           // 0000000077DC: BEB60080
	s_mov_b32 s55, -1                                          // 0000000077E0: BEB700C1
	s_mov_b64 exec, s[54:55]                                   // 0000000077E4: BEFE0136
	global_atomic_pk_add_bf16 v4, v90, s[16:17]                // 0000000077E8: DD488000 00105A04
	s_addk_i32 s33, 0x1                                        // 0000000077F0: B7210001
	s_mov_b32 s54, -1                                          // 0000000077F4: BEB600C1
	s_mov_b32 s55, -1                                          // 0000000077F8: BEB700C1
	s_mov_b64 exec, s[54:55]                                   // 0000000077FC: BEFE0136
	v_add_u32_e64 v4, v4, s31                                  // 000000007800: D1340004 00003F04
	s_cmp_lt_i32 s33, s51                                      // 000000007808: BF043321
	s_cbranch_scc0 label_166B                                  // 00000000780C: BF8402A7
	s_mov_b32 s54, -1                                          // 000000007810: BEB600C1
	s_mov_b32 s55, 0                                           // 000000007814: BEB70080
	s_mov_b64 exec, s[54:55]                                   // 000000007818: BEFE0136
	global_atomic_pk_add_bf16 v4, v91, s[16:17]                // 00000000781C: DD488000 00105B04
	s_addk_i32 s33, 0x1                                        // 000000007824: B7210001
	s_cmp_lt_i32 s33, s51                                      // 000000007828: BF043321
	s_cbranch_scc0 label_166B                                  // 00000000782C: BF84029F
	s_mov_b32 s54, 0                                           // 000000007830: BEB60080
	s_mov_b32 s55, -1                                          // 000000007834: BEB700C1
	s_mov_b64 exec, s[54:55]                                   // 000000007838: BEFE0136
	global_atomic_pk_add_bf16 v4, v91, s[16:17]                // 00000000783C: DD488000 00105B04
	s_addk_i32 s33, 0x1                                        // 000000007844: B7210001
	s_mov_b32 s54, -1                                          // 000000007848: BEB600C1
	s_mov_b32 s55, -1                                          // 00000000784C: BEB700C1
	s_mov_b64 exec, s[54:55]                                   // 000000007850: BEFE0136
	v_add_u32_e64 v4, v4, s31                                  // 000000007854: D1340004 00003F04
	s_cmp_lt_i32 s33, s51                                      // 00000000785C: BF043321
	s_cbranch_scc0 label_166B                                  // 000000007860: BF840292
	s_mov_b32 s54, -1                                          // 000000007864: BEB600C1
	s_mov_b32 s55, 0                                           // 000000007868: BEB70080
	s_mov_b64 exec, s[54:55]                                   // 00000000786C: BEFE0136
	global_atomic_pk_add_bf16 v4, v92, s[16:17]                // 000000007870: DD488000 00105C04
	s_addk_i32 s33, 0x1                                        // 000000007878: B7210001
	s_cmp_lt_i32 s33, s51                                      // 00000000787C: BF043321
	s_cbranch_scc0 label_166B                                  // 000000007880: BF84028A
	s_mov_b32 s54, 0                                           // 000000007884: BEB60080
	s_mov_b32 s55, -1                                          // 000000007888: BEB700C1
	s_mov_b64 exec, s[54:55]                                   // 00000000788C: BEFE0136
	global_atomic_pk_add_bf16 v4, v92, s[16:17]                // 000000007890: DD488000 00105C04
	s_addk_i32 s33, 0x1                                        // 000000007898: B7210001
	s_mov_b32 s54, -1                                          // 00000000789C: BEB600C1
	s_mov_b32 s55, -1                                          // 0000000078A0: BEB700C1
	s_mov_b64 exec, s[54:55]                                   // 0000000078A4: BEFE0136
	v_add_u32_e64 v4, v4, s31                                  // 0000000078A8: D1340004 00003F04
	s_cmp_lt_i32 s33, s51                                      // 0000000078B0: BF043321
	s_cbranch_scc0 label_166B                                  // 0000000078B4: BF84027D
	s_mov_b32 s54, -1                                          // 0000000078B8: BEB600C1
	s_mov_b32 s55, 0                                           // 0000000078BC: BEB70080
	s_mov_b64 exec, s[54:55]                                   // 0000000078C0: BEFE0136
	global_atomic_pk_add_bf16 v4, v93, s[16:17]                // 0000000078C4: DD488000 00105D04
	s_addk_i32 s33, 0x1                                        // 0000000078CC: B7210001
	s_cmp_lt_i32 s33, s51                                      // 0000000078D0: BF043321
	s_cbranch_scc0 label_166B                                  // 0000000078D4: BF840275
	s_mov_b32 s54, 0                                           // 0000000078D8: BEB60080
	s_mov_b32 s55, -1                                          // 0000000078DC: BEB700C1
	s_mov_b64 exec, s[54:55]                                   // 0000000078E0: BEFE0136
	global_atomic_pk_add_bf16 v4, v93, s[16:17]                // 0000000078E4: DD488000 00105D04
	s_addk_i32 s33, 0x1                                        // 0000000078EC: B7210001
	s_mov_b32 s54, -1                                          // 0000000078F0: BEB600C1
	s_mov_b32 s55, -1                                          // 0000000078F4: BEB700C1
	s_mov_b64 exec, s[54:55]                                   // 0000000078F8: BEFE0136
	v_add_u32_e64 v4, v4, s31                                  // 0000000078FC: D1340004 00003F04
	s_cmp_lt_i32 s33, s51                                      // 000000007904: BF043321
	s_cbranch_scc0 label_166B                                  // 000000007908: BF840268
	s_mov_b32 s54, -1                                          // 00000000790C: BEB600C1
	s_mov_b32 s55, 0                                           // 000000007910: BEB70080
	s_mov_b64 exec, s[54:55]                                   // 000000007914: BEFE0136
	global_atomic_pk_add_bf16 v4, v94, s[16:17]                // 000000007918: DD488000 00105E04
	s_addk_i32 s33, 0x1                                        // 000000007920: B7210001
	s_cmp_lt_i32 s33, s51                                      // 000000007924: BF043321
	s_cbranch_scc0 label_166B                                  // 000000007928: BF840260
	s_mov_b32 s54, 0                                           // 00000000792C: BEB60080
	s_mov_b32 s55, -1                                          // 000000007930: BEB700C1
	s_mov_b64 exec, s[54:55]                                   // 000000007934: BEFE0136
	global_atomic_pk_add_bf16 v4, v94, s[16:17]                // 000000007938: DD488000 00105E04
	s_addk_i32 s33, 0x1                                        // 000000007940: B7210001
	s_mov_b32 s54, -1                                          // 000000007944: BEB600C1
	s_mov_b32 s55, -1                                          // 000000007948: BEB700C1
	s_mov_b64 exec, s[54:55]                                   // 00000000794C: BEFE0136
	v_add_u32_e64 v4, v4, s31                                  // 000000007950: D1340004 00003F04
	s_cmp_lt_i32 s33, s51                                      // 000000007958: BF043321
	s_cbranch_scc0 label_166B                                  // 00000000795C: BF840253
	s_mov_b32 s54, -1                                          // 000000007960: BEB600C1
	s_mov_b32 s55, 0                                           // 000000007964: BEB70080
	s_mov_b64 exec, s[54:55]                                   // 000000007968: BEFE0136
	global_atomic_pk_add_bf16 v4, v95, s[16:17]                // 00000000796C: DD488000 00105F04
	s_addk_i32 s33, 0x1                                        // 000000007974: B7210001
	s_cmp_lt_i32 s33, s51                                      // 000000007978: BF043321
	s_cbranch_scc0 label_166B                                  // 00000000797C: BF84024B
	s_mov_b32 s54, 0                                           // 000000007980: BEB60080
	s_mov_b32 s55, -1                                          // 000000007984: BEB700C1
	s_mov_b64 exec, s[54:55]                                   // 000000007988: BEFE0136
	global_atomic_pk_add_bf16 v4, v95, s[16:17]                // 00000000798C: DD488000 00105F04
	s_addk_i32 s33, 0x1                                        // 000000007994: B7210001
	s_mov_b32 s54, -1                                          // 000000007998: BEB600C1
	s_mov_b32 s55, -1                                          // 00000000799C: BEB700C1
	s_mov_b64 exec, s[54:55]                                   // 0000000079A0: BEFE0136
	v_add_u32_e64 v4, v4, s31                                  // 0000000079A4: D1340004 00003F04
	s_cmp_lt_i32 s33, s51                                      // 0000000079AC: BF043321
	s_cbranch_scc0 label_166B                                  // 0000000079B0: BF84023E
	s_mov_b32 s54, -1                                          // 0000000079B4: BEB600C1
	s_mov_b32 s55, 0                                           // 0000000079B8: BEB70080
	s_mov_b64 exec, s[54:55]                                   // 0000000079BC: BEFE0136
	global_atomic_pk_add_bf16 v4, v96, s[16:17]                // 0000000079C0: DD488000 00106004
	s_addk_i32 s33, 0x1                                        // 0000000079C8: B7210001
	s_cmp_lt_i32 s33, s51                                      // 0000000079CC: BF043321
	s_cbranch_scc0 label_166B                                  // 0000000079D0: BF840236
	s_mov_b32 s54, 0                                           // 0000000079D4: BEB60080
	s_mov_b32 s55, -1                                          // 0000000079D8: BEB700C1
	s_mov_b64 exec, s[54:55]                                   // 0000000079DC: BEFE0136
	global_atomic_pk_add_bf16 v4, v96, s[16:17]                // 0000000079E0: DD488000 00106004
	s_addk_i32 s33, 0x1                                        // 0000000079E8: B7210001
	s_mov_b32 s54, -1                                          // 0000000079EC: BEB600C1
	s_mov_b32 s55, -1                                          // 0000000079F0: BEB700C1
	s_mov_b64 exec, s[54:55]                                   // 0000000079F4: BEFE0136
	v_add_u32_e64 v4, v4, s31                                  // 0000000079F8: D1340004 00003F04
	s_cmp_lt_i32 s33, s51                                      // 000000007A00: BF043321
	s_cbranch_scc0 label_166B                                  // 000000007A04: BF840229
	s_mov_b32 s54, -1                                          // 000000007A08: BEB600C1
	s_mov_b32 s55, 0                                           // 000000007A0C: BEB70080
	s_mov_b64 exec, s[54:55]                                   // 000000007A10: BEFE0136
	global_atomic_pk_add_bf16 v4, v97, s[16:17]                // 000000007A14: DD488000 00106104
	s_addk_i32 s33, 0x1                                        // 000000007A1C: B7210001
	s_cmp_lt_i32 s33, s51                                      // 000000007A20: BF043321
	s_cbranch_scc0 label_166B                                  // 000000007A24: BF840221
	s_mov_b32 s54, 0                                           // 000000007A28: BEB60080
	s_mov_b32 s55, -1                                          // 000000007A2C: BEB700C1
	s_mov_b64 exec, s[54:55]                                   // 000000007A30: BEFE0136
	global_atomic_pk_add_bf16 v4, v97, s[16:17]                // 000000007A34: DD488000 00106104
	s_addk_i32 s33, 0x1                                        // 000000007A3C: B7210001
	s_mov_b32 s54, -1                                          // 000000007A40: BEB600C1
	s_mov_b32 s55, -1                                          // 000000007A44: BEB700C1
	s_mov_b64 exec, s[54:55]                                   // 000000007A48: BEFE0136
	v_add_u32_e64 v4, v4, s31                                  // 000000007A4C: D1340004 00003F04
	s_cmp_lt_i32 s33, s51                                      // 000000007A54: BF043321
	s_cbranch_scc0 label_166B                                  // 000000007A58: BF840214
	s_mov_b32 s54, -1                                          // 000000007A5C: BEB600C1
	s_mov_b32 s55, 0                                           // 000000007A60: BEB70080
	s_mov_b64 exec, s[54:55]                                   // 000000007A64: BEFE0136
	global_atomic_pk_add_bf16 v4, v98, s[16:17]                // 000000007A68: DD488000 00106204
	s_addk_i32 s33, 0x1                                        // 000000007A70: B7210001
	s_cmp_lt_i32 s33, s51                                      // 000000007A74: BF043321
	s_cbranch_scc0 label_166B                                  // 000000007A78: BF84020C
	s_mov_b32 s54, 0                                           // 000000007A7C: BEB60080
	s_mov_b32 s55, -1                                          // 000000007A80: BEB700C1
	s_mov_b64 exec, s[54:55]                                   // 000000007A84: BEFE0136
	global_atomic_pk_add_bf16 v4, v98, s[16:17]                // 000000007A88: DD488000 00106204
	s_addk_i32 s33, 0x1                                        // 000000007A90: B7210001
	s_mov_b32 s54, -1                                          // 000000007A94: BEB600C1
	s_mov_b32 s55, -1                                          // 000000007A98: BEB700C1
	s_mov_b64 exec, s[54:55]                                   // 000000007A9C: BEFE0136
	v_add_u32_e64 v4, v4, s31                                  // 000000007AA0: D1340004 00003F04
	s_cmp_lt_i32 s33, s51                                      // 000000007AA8: BF043321
	s_cbranch_scc0 label_166B                                  // 000000007AAC: BF8401FF
	s_mov_b32 s54, -1                                          // 000000007AB0: BEB600C1
	s_mov_b32 s55, 0                                           // 000000007AB4: BEB70080
	s_mov_b64 exec, s[54:55]                                   // 000000007AB8: BEFE0136
	global_atomic_pk_add_bf16 v4, v99, s[16:17]                // 000000007ABC: DD488000 00106304
	s_addk_i32 s33, 0x1                                        // 000000007AC4: B7210001
	s_cmp_lt_i32 s33, s51                                      // 000000007AC8: BF043321
	s_cbranch_scc0 label_166B                                  // 000000007ACC: BF8401F7
	s_mov_b32 s54, 0                                           // 000000007AD0: BEB60080
	s_mov_b32 s55, -1                                          // 000000007AD4: BEB700C1
	s_mov_b64 exec, s[54:55]                                   // 000000007AD8: BEFE0136
	global_atomic_pk_add_bf16 v4, v99, s[16:17]                // 000000007ADC: DD488000 00106304
	s_addk_i32 s33, 0x1                                        // 000000007AE4: B7210001
	s_mov_b32 s54, -1                                          // 000000007AE8: BEB600C1
	s_mov_b32 s55, -1                                          // 000000007AEC: BEB700C1
	s_mov_b64 exec, s[54:55]                                   // 000000007AF0: BEFE0136
	v_add_u32_e64 v4, v4, s31                                  // 000000007AF4: D1340004 00003F04
	s_cmp_lt_i32 s33, s51                                      // 000000007AFC: BF043321
	s_cbranch_scc0 label_166B                                  // 000000007B00: BF8401EA
	s_mov_b32 s54, -1                                          // 000000007B04: BEB600C1
	s_mov_b32 s55, 0                                           // 000000007B08: BEB70080
	s_mov_b64 exec, s[54:55]                                   // 000000007B0C: BEFE0136
	global_atomic_pk_add_bf16 v4, v100, s[16:17]               // 000000007B10: DD488000 00106404
	s_addk_i32 s33, 0x1                                        // 000000007B18: B7210001
	s_cmp_lt_i32 s33, s51                                      // 000000007B1C: BF043321
	s_cbranch_scc0 label_166B                                  // 000000007B20: BF8401E2
	s_mov_b32 s54, 0                                           // 000000007B24: BEB60080
	s_mov_b32 s55, -1                                          // 000000007B28: BEB700C1
	s_mov_b64 exec, s[54:55]                                   // 000000007B2C: BEFE0136
	global_atomic_pk_add_bf16 v4, v100, s[16:17]               // 000000007B30: DD488000 00106404
	s_addk_i32 s33, 0x1                                        // 000000007B38: B7210001
	s_mov_b32 s54, -1                                          // 000000007B3C: BEB600C1
	s_mov_b32 s55, -1                                          // 000000007B40: BEB700C1
	s_mov_b64 exec, s[54:55]                                   // 000000007B44: BEFE0136
	v_add_u32_e64 v4, v4, s31                                  // 000000007B48: D1340004 00003F04
	s_cmp_lt_i32 s33, s51                                      // 000000007B50: BF043321
	s_cbranch_scc0 label_166B                                  // 000000007B54: BF8401D5
	s_mov_b32 s54, -1                                          // 000000007B58: BEB600C1
	s_mov_b32 s55, 0                                           // 000000007B5C: BEB70080
	s_mov_b64 exec, s[54:55]                                   // 000000007B60: BEFE0136
	global_atomic_pk_add_bf16 v4, v101, s[16:17]               // 000000007B64: DD488000 00106504
	s_addk_i32 s33, 0x1                                        // 000000007B6C: B7210001
	s_cmp_lt_i32 s33, s51                                      // 000000007B70: BF043321
	s_cbranch_scc0 label_166B                                  // 000000007B74: BF8401CD
	s_mov_b32 s54, 0                                           // 000000007B78: BEB60080
	s_mov_b32 s55, -1                                          // 000000007B7C: BEB700C1
	s_mov_b64 exec, s[54:55]                                   // 000000007B80: BEFE0136
	global_atomic_pk_add_bf16 v4, v101, s[16:17]               // 000000007B84: DD488000 00106504
	s_addk_i32 s33, 0x1                                        // 000000007B8C: B7210001
	s_mov_b32 s54, -1                                          // 000000007B90: BEB600C1
	s_mov_b32 s55, -1                                          // 000000007B94: BEB700C1
	s_mov_b64 exec, s[54:55]                                   // 000000007B98: BEFE0136
	v_add_u32_e64 v4, v4, s31                                  // 000000007B9C: D1340004 00003F04
	s_cmp_lt_i32 s33, s51                                      // 000000007BA4: BF043321
	s_cbranch_scc0 label_166B                                  // 000000007BA8: BF8401C0
	s_mov_b32 s54, -1                                          // 000000007BAC: BEB600C1
	s_mov_b32 s55, 0                                           // 000000007BB0: BEB70080
	s_mov_b64 exec, s[54:55]                                   // 000000007BB4: BEFE0136
	global_atomic_pk_add_bf16 v4, v102, s[16:17]               // 000000007BB8: DD488000 00106604
	s_addk_i32 s33, 0x1                                        // 000000007BC0: B7210001
	s_cmp_lt_i32 s33, s51                                      // 000000007BC4: BF043321
	s_cbranch_scc0 label_166B                                  // 000000007BC8: BF8401B8
	s_mov_b32 s54, 0                                           // 000000007BCC: BEB60080
	s_mov_b32 s55, -1                                          // 000000007BD0: BEB700C1
	s_mov_b64 exec, s[54:55]                                   // 000000007BD4: BEFE0136
	global_atomic_pk_add_bf16 v4, v102, s[16:17]               // 000000007BD8: DD488000 00106604
	s_addk_i32 s33, 0x1                                        // 000000007BE0: B7210001
	s_mov_b32 s54, -1                                          // 000000007BE4: BEB600C1
	s_mov_b32 s55, -1                                          // 000000007BE8: BEB700C1
	s_mov_b64 exec, s[54:55]                                   // 000000007BEC: BEFE0136
	v_add_u32_e64 v4, v4, s31                                  // 000000007BF0: D1340004 00003F04
	s_cmp_lt_i32 s33, s51                                      // 000000007BF8: BF043321
	s_cbranch_scc0 label_166B                                  // 000000007BFC: BF8401AB
	s_mov_b32 s54, -1                                          // 000000007C00: BEB600C1
	s_mov_b32 s55, 0                                           // 000000007C04: BEB70080
	s_mov_b64 exec, s[54:55]                                   // 000000007C08: BEFE0136
	global_atomic_pk_add_bf16 v4, v103, s[16:17]               // 000000007C0C: DD488000 00106704
	s_addk_i32 s33, 0x1                                        // 000000007C14: B7210001
	s_cmp_lt_i32 s33, s51                                      // 000000007C18: BF043321
	s_cbranch_scc0 label_166B                                  // 000000007C1C: BF8401A3
	s_mov_b32 s54, 0                                           // 000000007C20: BEB60080
	s_mov_b32 s55, -1                                          // 000000007C24: BEB700C1
	s_mov_b64 exec, s[54:55]                                   // 000000007C28: BEFE0136
	global_atomic_pk_add_bf16 v4, v103, s[16:17]               // 000000007C2C: DD488000 00106704
	s_addk_i32 s33, 0x1                                        // 000000007C34: B7210001
	s_mov_b32 s54, -1                                          // 000000007C38: BEB600C1
	s_mov_b32 s55, -1                                          // 000000007C3C: BEB700C1
	s_mov_b64 exec, s[54:55]                                   // 000000007C40: BEFE0136
	v_add_u32_e64 v4, v4, s31                                  // 000000007C44: D1340004 00003F04
	s_cmp_lt_i32 s33, s51                                      // 000000007C4C: BF043321
	s_cbranch_scc0 label_166B                                  // 000000007C50: BF840196
	s_mov_b32 s54, -1                                          // 000000007C54: BEB600C1
	s_mov_b32 s55, 0                                           // 000000007C58: BEB70080
	s_mov_b64 exec, s[54:55]                                   // 000000007C5C: BEFE0136
	global_atomic_pk_add_bf16 v4, v104, s[16:17]               // 000000007C60: DD488000 00106804
	s_addk_i32 s33, 0x1                                        // 000000007C68: B7210001
	s_cmp_lt_i32 s33, s51                                      // 000000007C6C: BF043321
	s_cbranch_scc0 label_166B                                  // 000000007C70: BF84018E
	s_mov_b32 s54, 0                                           // 000000007C74: BEB60080
	s_mov_b32 s55, -1                                          // 000000007C78: BEB700C1
	s_mov_b64 exec, s[54:55]                                   // 000000007C7C: BEFE0136
	global_atomic_pk_add_bf16 v4, v104, s[16:17]               // 000000007C80: DD488000 00106804
	s_addk_i32 s33, 0x1                                        // 000000007C88: B7210001
	s_mov_b32 s54, -1                                          // 000000007C8C: BEB600C1
	s_mov_b32 s55, -1                                          // 000000007C90: BEB700C1
	s_mov_b64 exec, s[54:55]                                   // 000000007C94: BEFE0136
	v_add_u32_e64 v4, v4, s31                                  // 000000007C98: D1340004 00003F04
	s_cmp_lt_i32 s33, s51                                      // 000000007CA0: BF043321
	s_cbranch_scc0 label_166B                                  // 000000007CA4: BF840181
	s_mov_b32 s54, -1                                          // 000000007CA8: BEB600C1
	s_mov_b32 s55, 0                                           // 000000007CAC: BEB70080
	s_mov_b64 exec, s[54:55]                                   // 000000007CB0: BEFE0136
	global_atomic_pk_add_bf16 v4, v105, s[16:17]               // 000000007CB4: DD488000 00106904
	s_addk_i32 s33, 0x1                                        // 000000007CBC: B7210001
	s_cmp_lt_i32 s33, s51                                      // 000000007CC0: BF043321
	s_cbranch_scc0 label_166B                                  // 000000007CC4: BF840179
	s_mov_b32 s54, 0                                           // 000000007CC8: BEB60080
	s_mov_b32 s55, -1                                          // 000000007CCC: BEB700C1
	s_mov_b64 exec, s[54:55]                                   // 000000007CD0: BEFE0136
	global_atomic_pk_add_bf16 v4, v105, s[16:17]               // 000000007CD4: DD488000 00106904
	s_addk_i32 s33, 0x1                                        // 000000007CDC: B7210001
	s_mov_b32 s54, -1                                          // 000000007CE0: BEB600C1
	s_mov_b32 s55, -1                                          // 000000007CE4: BEB700C1
	s_mov_b64 exec, s[54:55]                                   // 000000007CE8: BEFE0136
	v_add_u32_e64 v4, v4, s31                                  // 000000007CEC: D1340004 00003F04
	s_cmp_lt_i32 s33, s51                                      // 000000007CF4: BF043321
	s_cbranch_scc0 label_166B                                  // 000000007CF8: BF84016C
	s_mov_b32 s54, -1                                          // 000000007CFC: BEB600C1
	s_mov_b32 s55, 0                                           // 000000007D00: BEB70080
	s_mov_b64 exec, s[54:55]                                   // 000000007D04: BEFE0136
	global_atomic_pk_add_bf16 v4, v106, s[16:17]               // 000000007D08: DD488000 00106A04
	s_addk_i32 s33, 0x1                                        // 000000007D10: B7210001
	s_cmp_lt_i32 s33, s51                                      // 000000007D14: BF043321
	s_cbranch_scc0 label_166B                                  // 000000007D18: BF840164
	s_mov_b32 s54, 0                                           // 000000007D1C: BEB60080
	s_mov_b32 s55, -1                                          // 000000007D20: BEB700C1
	s_mov_b64 exec, s[54:55]                                   // 000000007D24: BEFE0136
	global_atomic_pk_add_bf16 v4, v106, s[16:17]               // 000000007D28: DD488000 00106A04
	s_addk_i32 s33, 0x1                                        // 000000007D30: B7210001
	s_mov_b32 s54, -1                                          // 000000007D34: BEB600C1
	s_mov_b32 s55, -1                                          // 000000007D38: BEB700C1
	s_mov_b64 exec, s[54:55]                                   // 000000007D3C: BEFE0136
	v_add_u32_e64 v4, v4, s31                                  // 000000007D40: D1340004 00003F04
	s_cmp_lt_i32 s33, s51                                      // 000000007D48: BF043321
	s_cbranch_scc0 label_166B                                  // 000000007D4C: BF840157
	s_mov_b32 s54, -1                                          // 000000007D50: BEB600C1
	s_mov_b32 s55, 0                                           // 000000007D54: BEB70080
	s_mov_b64 exec, s[54:55]                                   // 000000007D58: BEFE0136
	global_atomic_pk_add_bf16 v4, v107, s[16:17]               // 000000007D5C: DD488000 00106B04
	s_addk_i32 s33, 0x1                                        // 000000007D64: B7210001
	s_cmp_lt_i32 s33, s51                                      // 000000007D68: BF043321
	s_cbranch_scc0 label_166B                                  // 000000007D6C: BF84014F
	s_mov_b32 s54, 0                                           // 000000007D70: BEB60080
	s_mov_b32 s55, -1                                          // 000000007D74: BEB700C1
	s_mov_b64 exec, s[54:55]                                   // 000000007D78: BEFE0136
	global_atomic_pk_add_bf16 v4, v107, s[16:17]               // 000000007D7C: DD488000 00106B04
	s_addk_i32 s33, 0x1                                        // 000000007D84: B7210001
	s_mov_b32 s54, -1                                          // 000000007D88: BEB600C1
	s_mov_b32 s55, -1                                          // 000000007D8C: BEB700C1
	s_mov_b64 exec, s[54:55]                                   // 000000007D90: BEFE0136
	v_add_u32_e64 v4, v4, s31                                  // 000000007D94: D1340004 00003F04
	s_branch label_166B                                        // 000000007D9C: BF820143

0000000000007da0 <label_1528>:
	s_cmp_lt_u32 s50, 1                                        // 000000007DA0: BF0A8132
	s_cbranch_scc0 label_153F                                  // 000000007DA4: BF840015
	buffer_store_dwordx4 v[48:51], v12, s[16:19], 0 offen      // 000000007DA8: E07C1000 8004300C
	buffer_store_dwordx4 v[52:55], v13, s[16:19], 0 offen      // 000000007DB0: E07C1000 8004340D
	buffer_store_dwordx4 v[56:59], v14, s[16:19], 0 offen      // 000000007DB8: E07C1000 8004380E
	buffer_store_dwordx4 v[60:63], v15, s[16:19], 0 offen      // 000000007DC0: E07C1000 80043C0F
	buffer_store_dwordx4 v[64:67], v16, s[16:19], 0 offen      // 000000007DC8: E07C1000 80044010
	buffer_store_dwordx4 v[68:71], v17, s[16:19], 0 offen      // 000000007DD0: E07C1000 80044411
	buffer_store_dwordx4 v[72:75], v18, s[16:19], 0 offen      // 000000007DD8: E07C1000 80044812
	buffer_store_dwordx4 v[76:79], v19, s[16:19], 0 offen      // 000000007DE0: E07C1000 80044C13
	buffer_store_dwordx4 v[80:83], v20, s[16:19], 0 offen      // 000000007DE8: E07C1000 80045014
	buffer_store_dwordx4 v[84:87], v21, s[16:19], 0 offen      // 000000007DF0: E07C1000 80045415
	s_branch label_166B                                        // 000000007DF8: BF82012C

0000000000007dfc <label_153F>:
	v_cmp_u_f32_e64 s[56:57], v48, v48                         // 000000007DFC: D0480038 00026130
	v_add3_u32 v8, v48, v11, 1                                 // 000000007E04: D1FF0008 02061730
	v_cndmask_b32_e64 v4, v8, v10, s[56:57]                    // 000000007E0C: D1000004 00E21508
	v_cmp_u_f32_e64 s[56:57], v49, v49                         // 000000007E14: D0480038 00026331
	v_add3_u32 v8, v49, v11, 1                                 // 000000007E1C: D1FF0008 02061731
	v_cndmask_b32_e64 v5, v8, v10, s[56:57]                    // 000000007E24: D1000005 00E21508
	v_perm_b32 v88, v5, v4, s35                                // 000000007E2C: D1ED0058 008E0905
	v_cmp_u_f32_e64 s[56:57], v50, v50                         // 000000007E34: D0480038 00026532
	v_add3_u32 v8, v50, v11, 1                                 // 000000007E3C: D1FF0008 02061732
	v_cndmask_b32_e64 v4, v8, v10, s[56:57]                    // 000000007E44: D1000004 00E21508
	v_cmp_u_f32_e64 s[56:57], v51, v51                         // 000000007E4C: D0480038 00026733
	v_add3_u32 v8, v51, v11, 1                                 // 000000007E54: D1FF0008 02061733
	v_cndmask_b32_e64 v5, v8, v10, s[56:57]                    // 000000007E5C: D1000005 00E21508
	v_perm_b32 v89, v5, v4, s35                                // 000000007E64: D1ED0059 008E0905
	buffer_store_dwordx2 v[88:89], v12, s[16:19], 0 offen      // 000000007E6C: E0741000 8004580C
	v_cmp_u_f32_e64 s[56:57], v52, v52                         // 000000007E74: D0480038 00026934
	v_add3_u32 v8, v52, v11, 1                                 // 000000007E7C: D1FF0008 02061734
	v_cndmask_b32_e64 v4, v8, v10, s[56:57]                    // 000000007E84: D1000004 00E21508
	v_cmp_u_f32_e64 s[56:57], v53, v53                         // 000000007E8C: D0480038 00026B35
	v_add3_u32 v8, v53, v11, 1                                 // 000000007E94: D1FF0008 02061735
	v_cndmask_b32_e64 v5, v8, v10, s[56:57]                    // 000000007E9C: D1000005 00E21508
	v_perm_b32 v90, v5, v4, s35                                // 000000007EA4: D1ED005A 008E0905
	v_cmp_u_f32_e64 s[56:57], v54, v54                         // 000000007EAC: D0480038 00026D36
	v_add3_u32 v8, v54, v11, 1                                 // 000000007EB4: D1FF0008 02061736
	v_cndmask_b32_e64 v4, v8, v10, s[56:57]                    // 000000007EBC: D1000004 00E21508
	v_cmp_u_f32_e64 s[56:57], v55, v55                         // 000000007EC4: D0480038 00026F37
	v_add3_u32 v8, v55, v11, 1                                 // 000000007ECC: D1FF0008 02061737
	v_cndmask_b32_e64 v5, v8, v10, s[56:57]                    // 000000007ED4: D1000005 00E21508
	v_perm_b32 v91, v5, v4, s35                                // 000000007EDC: D1ED005B 008E0905
	buffer_store_dwordx2 v[90:91], v13, s[16:19], 0 offen      // 000000007EE4: E0741000 80045A0D
	v_cmp_u_f32_e64 s[56:57], v56, v56                         // 000000007EEC: D0480038 00027138
	v_add3_u32 v8, v56, v11, 1                                 // 000000007EF4: D1FF0008 02061738
	v_cndmask_b32_e64 v4, v8, v10, s[56:57]                    // 000000007EFC: D1000004 00E21508
	v_cmp_u_f32_e64 s[56:57], v57, v57                         // 000000007F04: D0480038 00027339
	v_add3_u32 v8, v57, v11, 1                                 // 000000007F0C: D1FF0008 02061739
	v_cndmask_b32_e64 v5, v8, v10, s[56:57]                    // 000000007F14: D1000005 00E21508
	v_perm_b32 v92, v5, v4, s35                                // 000000007F1C: D1ED005C 008E0905
	v_cmp_u_f32_e64 s[56:57], v58, v58                         // 000000007F24: D0480038 0002753A
	v_add3_u32 v8, v58, v11, 1                                 // 000000007F2C: D1FF0008 0206173A
	v_cndmask_b32_e64 v4, v8, v10, s[56:57]                    // 000000007F34: D1000004 00E21508
	v_cmp_u_f32_e64 s[56:57], v59, v59                         // 000000007F3C: D0480038 0002773B
	v_add3_u32 v8, v59, v11, 1                                 // 000000007F44: D1FF0008 0206173B
	v_cndmask_b32_e64 v5, v8, v10, s[56:57]                    // 000000007F4C: D1000005 00E21508
	v_perm_b32 v93, v5, v4, s35                                // 000000007F54: D1ED005D 008E0905
	buffer_store_dwordx2 v[92:93], v14, s[16:19], 0 offen      // 000000007F5C: E0741000 80045C0E
	v_cmp_u_f32_e64 s[56:57], v60, v60                         // 000000007F64: D0480038 0002793C
	v_add3_u32 v8, v60, v11, 1                                 // 000000007F6C: D1FF0008 0206173C
	v_cndmask_b32_e64 v4, v8, v10, s[56:57]                    // 000000007F74: D1000004 00E21508
	v_cmp_u_f32_e64 s[56:57], v61, v61                         // 000000007F7C: D0480038 00027B3D
	v_add3_u32 v8, v61, v11, 1                                 // 000000007F84: D1FF0008 0206173D
	v_cndmask_b32_e64 v5, v8, v10, s[56:57]                    // 000000007F8C: D1000005 00E21508
	v_perm_b32 v94, v5, v4, s35                                // 000000007F94: D1ED005E 008E0905
	v_cmp_u_f32_e64 s[56:57], v62, v62                         // 000000007F9C: D0480038 00027D3E
	v_add3_u32 v8, v62, v11, 1                                 // 000000007FA4: D1FF0008 0206173E
	v_cndmask_b32_e64 v4, v8, v10, s[56:57]                    // 000000007FAC: D1000004 00E21508
	v_cmp_u_f32_e64 s[56:57], v63, v63                         // 000000007FB4: D0480038 00027F3F
	v_add3_u32 v8, v63, v11, 1                                 // 000000007FBC: D1FF0008 0206173F
	v_cndmask_b32_e64 v5, v8, v10, s[56:57]                    // 000000007FC4: D1000005 00E21508
	v_perm_b32 v95, v5, v4, s35                                // 000000007FCC: D1ED005F 008E0905
	buffer_store_dwordx2 v[94:95], v15, s[16:19], 0 offen      // 000000007FD4: E0741000 80045E0F
	v_cmp_u_f32_e64 s[56:57], v64, v64                         // 000000007FDC: D0480038 00028140
	v_add3_u32 v8, v64, v11, 1                                 // 000000007FE4: D1FF0008 02061740
	v_cndmask_b32_e64 v4, v8, v10, s[56:57]                    // 000000007FEC: D1000004 00E21508
	v_cmp_u_f32_e64 s[56:57], v65, v65                         // 000000007FF4: D0480038 00028341
	v_add3_u32 v8, v65, v11, 1                                 // 000000007FFC: D1FF0008 02061741
	v_cndmask_b32_e64 v5, v8, v10, s[56:57]                    // 000000008004: D1000005 00E21508
	v_perm_b32 v96, v5, v4, s35                                // 00000000800C: D1ED0060 008E0905
	v_cmp_u_f32_e64 s[56:57], v66, v66                         // 000000008014: D0480038 00028542
	v_add3_u32 v8, v66, v11, 1                                 // 00000000801C: D1FF0008 02061742
	v_cndmask_b32_e64 v4, v8, v10, s[56:57]                    // 000000008024: D1000004 00E21508
	v_cmp_u_f32_e64 s[56:57], v67, v67                         // 00000000802C: D0480038 00028743
	v_add3_u32 v8, v67, v11, 1                                 // 000000008034: D1FF0008 02061743
	v_cndmask_b32_e64 v5, v8, v10, s[56:57]                    // 00000000803C: D1000005 00E21508
	v_perm_b32 v97, v5, v4, s35                                // 000000008044: D1ED0061 008E0905
	buffer_store_dwordx2 v[96:97], v16, s[16:19], 0 offen      // 00000000804C: E0741000 80046010
	v_cmp_u_f32_e64 s[56:57], v68, v68                         // 000000008054: D0480038 00028944
	v_add3_u32 v8, v68, v11, 1                                 // 00000000805C: D1FF0008 02061744
	v_cndmask_b32_e64 v4, v8, v10, s[56:57]                    // 000000008064: D1000004 00E21508
	v_cmp_u_f32_e64 s[56:57], v69, v69                         // 00000000806C: D0480038 00028B45
	v_add3_u32 v8, v69, v11, 1                                 // 000000008074: D1FF0008 02061745
	v_cndmask_b32_e64 v5, v8, v10, s[56:57]                    // 00000000807C: D1000005 00E21508
	v_perm_b32 v98, v5, v4, s35                                // 000000008084: D1ED0062 008E0905
	v_cmp_u_f32_e64 s[56:57], v70, v70                         // 00000000808C: D0480038 00028D46
	v_add3_u32 v8, v70, v11, 1                                 // 000000008094: D1FF0008 02061746
	v_cndmask_b32_e64 v4, v8, v10, s[56:57]                    // 00000000809C: D1000004 00E21508
	v_cmp_u_f32_e64 s[56:57], v71, v71                         // 0000000080A4: D0480038 00028F47
	v_add3_u32 v8, v71, v11, 1                                 // 0000000080AC: D1FF0008 02061747
	v_cndmask_b32_e64 v5, v8, v10, s[56:57]                    // 0000000080B4: D1000005 00E21508
	v_perm_b32 v99, v5, v4, s35                                // 0000000080BC: D1ED0063 008E0905
	buffer_store_dwordx2 v[98:99], v17, s[16:19], 0 offen      // 0000000080C4: E0741000 80046211
	v_cmp_u_f32_e64 s[56:57], v72, v72                         // 0000000080CC: D0480038 00029148
	v_add3_u32 v8, v72, v11, 1                                 // 0000000080D4: D1FF0008 02061748
	v_cndmask_b32_e64 v4, v8, v10, s[56:57]                    // 0000000080DC: D1000004 00E21508
	v_cmp_u_f32_e64 s[56:57], v73, v73                         // 0000000080E4: D0480038 00029349
	v_add3_u32 v8, v73, v11, 1                                 // 0000000080EC: D1FF0008 02061749
	v_cndmask_b32_e64 v5, v8, v10, s[56:57]                    // 0000000080F4: D1000005 00E21508
	v_perm_b32 v100, v5, v4, s35                               // 0000000080FC: D1ED0064 008E0905
	v_cmp_u_f32_e64 s[56:57], v74, v74                         // 000000008104: D0480038 0002954A
	v_add3_u32 v8, v74, v11, 1                                 // 00000000810C: D1FF0008 0206174A
	v_cndmask_b32_e64 v4, v8, v10, s[56:57]                    // 000000008114: D1000004 00E21508
	v_cmp_u_f32_e64 s[56:57], v75, v75                         // 00000000811C: D0480038 0002974B
	v_add3_u32 v8, v75, v11, 1                                 // 000000008124: D1FF0008 0206174B
	v_cndmask_b32_e64 v5, v8, v10, s[56:57]                    // 00000000812C: D1000005 00E21508
	v_perm_b32 v101, v5, v4, s35                               // 000000008134: D1ED0065 008E0905
	buffer_store_dwordx2 v[100:101], v18, s[16:19], 0 offen    // 00000000813C: E0741000 80046412
	v_cmp_u_f32_e64 s[56:57], v76, v76                         // 000000008144: D0480038 0002994C
	v_add3_u32 v8, v76, v11, 1                                 // 00000000814C: D1FF0008 0206174C
	v_cndmask_b32_e64 v4, v8, v10, s[56:57]                    // 000000008154: D1000004 00E21508
	v_cmp_u_f32_e64 s[56:57], v77, v77                         // 00000000815C: D0480038 00029B4D
	v_add3_u32 v8, v77, v11, 1                                 // 000000008164: D1FF0008 0206174D
	v_cndmask_b32_e64 v5, v8, v10, s[56:57]                    // 00000000816C: D1000005 00E21508
	v_perm_b32 v102, v5, v4, s35                               // 000000008174: D1ED0066 008E0905
	v_cmp_u_f32_e64 s[56:57], v78, v78                         // 00000000817C: D0480038 00029D4E
	v_add3_u32 v8, v78, v11, 1                                 // 000000008184: D1FF0008 0206174E
	v_cndmask_b32_e64 v4, v8, v10, s[56:57]                    // 00000000818C: D1000004 00E21508
	v_cmp_u_f32_e64 s[56:57], v79, v79                         // 000000008194: D0480038 00029F4F
	v_add3_u32 v8, v79, v11, 1                                 // 00000000819C: D1FF0008 0206174F
	v_cndmask_b32_e64 v5, v8, v10, s[56:57]                    // 0000000081A4: D1000005 00E21508
	v_perm_b32 v103, v5, v4, s35                               // 0000000081AC: D1ED0067 008E0905
	buffer_store_dwordx2 v[102:103], v19, s[16:19], 0 offen    // 0000000081B4: E0741000 80046613
	v_cmp_u_f32_e64 s[56:57], v80, v80                         // 0000000081BC: D0480038 0002A150
	v_add3_u32 v8, v80, v11, 1                                 // 0000000081C4: D1FF0008 02061750
	v_cndmask_b32_e64 v4, v8, v10, s[56:57]                    // 0000000081CC: D1000004 00E21508
	v_cmp_u_f32_e64 s[56:57], v81, v81                         // 0000000081D4: D0480038 0002A351
	v_add3_u32 v8, v81, v11, 1                                 // 0000000081DC: D1FF0008 02061751
	v_cndmask_b32_e64 v5, v8, v10, s[56:57]                    // 0000000081E4: D1000005 00E21508
	v_perm_b32 v104, v5, v4, s35                               // 0000000081EC: D1ED0068 008E0905
	v_cmp_u_f32_e64 s[56:57], v82, v82                         // 0000000081F4: D0480038 0002A552
	v_add3_u32 v8, v82, v11, 1                                 // 0000000081FC: D1FF0008 02061752
	v_cndmask_b32_e64 v4, v8, v10, s[56:57]                    // 000000008204: D1000004 00E21508
	v_cmp_u_f32_e64 s[56:57], v83, v83                         // 00000000820C: D0480038 0002A753
	v_add3_u32 v8, v83, v11, 1                                 // 000000008214: D1FF0008 02061753
	v_cndmask_b32_e64 v5, v8, v10, s[56:57]                    // 00000000821C: D1000005 00E21508
	v_perm_b32 v105, v5, v4, s35                               // 000000008224: D1ED0069 008E0905
	buffer_store_dwordx2 v[104:105], v20, s[16:19], 0 offen    // 00000000822C: E0741000 80046814
	v_cmp_u_f32_e64 s[56:57], v84, v84                         // 000000008234: D0480038 0002A954
	v_add3_u32 v8, v84, v11, 1                                 // 00000000823C: D1FF0008 02061754
	v_cndmask_b32_e64 v4, v8, v10, s[56:57]                    // 000000008244: D1000004 00E21508
	v_cmp_u_f32_e64 s[56:57], v85, v85                         // 00000000824C: D0480038 0002AB55
	v_add3_u32 v8, v85, v11, 1                                 // 000000008254: D1FF0008 02061755
	v_cndmask_b32_e64 v5, v8, v10, s[56:57]                    // 00000000825C: D1000005 00E21508
	v_perm_b32 v106, v5, v4, s35                               // 000000008264: D1ED006A 008E0905
	v_cmp_u_f32_e64 s[56:57], v86, v86                         // 00000000826C: D0480038 0002AD56
	v_add3_u32 v8, v86, v11, 1                                 // 000000008274: D1FF0008 02061756
	v_cndmask_b32_e64 v4, v8, v10, s[56:57]                    // 00000000827C: D1000004 00E21508
	v_cmp_u_f32_e64 s[56:57], v87, v87                         // 000000008284: D0480038 0002AF57
	v_add3_u32 v8, v87, v11, 1                                 // 00000000828C: D1FF0008 02061757
	v_cndmask_b32_e64 v5, v8, v10, s[56:57]                    // 000000008294: D1000005 00E21508
	v_perm_b32 v107, v5, v4, s35                               // 00000000829C: D1ED006B 008E0905
	buffer_store_dwordx2 v[106:107], v21, s[16:19], 0 offen    // 0000000082A4: E0741000 80046A15

00000000000082ac <label_166B>:
	s_waitcnt vmcnt(0) expcnt(0) lgkmcnt(0)                    // 0000000082AC: BF8C0000
	s_endpgm                                                   // 0000000082B0: BF810000
